;; amdgpu-corpus repo=ROCm/rocFFT kind=compiled arch=gfx1030 opt=O3
	.text
	.amdgcn_target "amdgcn-amd-amdhsa--gfx1030"
	.amdhsa_code_object_version 6
	.protected	bluestein_single_fwd_len5488_dim1_sp_op_CI_CI ; -- Begin function bluestein_single_fwd_len5488_dim1_sp_op_CI_CI
	.globl	bluestein_single_fwd_len5488_dim1_sp_op_CI_CI
	.p2align	8
	.type	bluestein_single_fwd_len5488_dim1_sp_op_CI_CI,@function
bluestein_single_fwd_len5488_dim1_sp_op_CI_CI: ; @bluestein_single_fwd_len5488_dim1_sp_op_CI_CI
; %bb.0:
	s_load_dwordx4 s[12:15], s[4:5], 0x28
	v_mul_u32_u24_e32 v1, 0x14f, v0
	s_mov_b64 s[22:23], s[2:3]
	s_mov_b64 s[20:21], s[0:1]
	v_mov_b32_e32 v2, 0
	s_add_u32 s20, s20, s7
	v_lshrrev_b32_e32 v3, 16, v1
	s_addc_u32 s21, s21, 0
	s_mov_b32 s0, exec_lo
	v_add_nc_u32_e32 v1, s6, v3
	s_waitcnt lgkmcnt(0)
	v_cmpx_gt_u64_e64 s[12:13], v[1:2]
	s_cbranch_execz .LBB0_2
; %bb.1:
	s_clause 0x2
	s_load_dwordx4 s[8:11], s[4:5], 0x0
	s_load_dwordx4 s[16:19], s[4:5], 0x18
	s_load_dwordx2 s[12:13], s[4:5], 0x38
	v_mul_lo_u16 v2, 0xc4, v3
	v_mov_b32_e32 v130, 3
	v_sub_nc_u16 v72, v0, v2
	v_and_b32_e32 v6, 0xffff, v72
	v_and_b32_e32 v73, 0xff, v72
	v_add_nc_u16 v133, v72, 0x310
	v_add_nc_u16 v131, v72, 0x3d4
	;; [unrolled: 1-line block ×3, first 2 shown]
	v_lshlrev_b32_e32 v69, 3, v6
	v_mov_b32_e32 v15, v6
	s_waitcnt lgkmcnt(0)
	s_load_dwordx4 s[0:3], s[18:19], 0x0
	v_add_nc_u32_e32 v191, 0x1800, v69
	v_add_co_u32 v71, null, 0xc4, v15
	v_mov_b32_e32 v24, v15
	v_add_nc_u32_e32 v190, 0x6200, v69
	v_add_nc_u32_e32 v56, 0x9e00, v69
	v_add_co_u32 v128, null, 0x188, v24
	v_mov_b32_e32 v27, v24
	v_mov_b32_e32 v139, v56
	v_lshrrev_b16 v134, 2, v128
	v_add_co_u32 v129, null, 0x24c, v27
	v_mov_b32_e32 v137, v27
	s_waitcnt lgkmcnt(0)
	v_mad_u64_u32 v[4:5], null, s2, v1, 0
	v_add_co_u32 v68, s2, s8, v69
	v_add_co_ci_u32_e64 v70, null, s9, 0, s2
	v_lshrrev_b16 v135, 2, v129
	v_mov_b32_e32 v184, v137
	v_mov_b32_e32 v0, v5
	;; [unrolled: 1-line block ×3, first 2 shown]
	v_mad_u64_u32 v[2:3], null, s3, v1, v[0:1]
	v_mov_b32_e32 v5, v2
	buffer_store_dword v4, off, s[20:23], 0 offset:184 ; 4-byte Folded Spill
	buffer_store_dword v5, off, s[20:23], 0 offset:188 ; 4-byte Folded Spill
	s_load_dwordx4 s[4:7], s[16:17], 0x0
	s_waitcnt lgkmcnt(0)
	v_mad_u64_u32 v[2:3], null, s6, v1, 0
	s_mul_i32 s2, s5, 0x1880
	s_mul_hi_u32 s3, s4, 0x1880
	s_mul_hi_u32 s6, s4, 0xffff7320
	s_add_i32 s2, s3, s2
	s_mul_i32 s3, s4, 0x1880
	s_sub_i32 s6, s6, s4
	v_mov_b32_e32 v0, v3
	v_mad_u64_u32 v[0:1], null, s7, v1, v[0:1]
	v_mov_b32_e32 v3, v0
	v_mad_u64_u32 v[0:1], null, s4, v6, 0
	s_mul_i32 s4, s4, 0xffff7320
	v_mad_u64_u32 v[4:5], null, s5, v6, v[1:2]
	global_load_dwordx2 v[5:6], v69, s[8:9]
	v_lshlrev_b64 v[2:3], 3, v[2:3]
	s_mul_i32 s5, s5, 0xffff7320
	s_add_i32 s5, s6, s5
	s_mul_hi_u32 s6, s0, 0xffff7320
	v_mov_b32_e32 v1, v4
	v_add_co_u32 v2, vcc_lo, s14, v2
	v_add_co_ci_u32_e32 v3, vcc_lo, s15, v3, vcc_lo
	v_lshlrev_b64 v[0:1], 3, v[0:1]
	s_sub_i32 s6, s6, s0
	v_add_co_u32 v0, vcc_lo, v2, v0
	v_add_co_ci_u32_e32 v1, vcc_lo, v3, v1, vcc_lo
	global_load_dwordx2 v[2:3], v[0:1], off
	v_add_co_u32 v0, vcc_lo, v0, s3
	v_add_co_ci_u32_e32 v1, vcc_lo, s2, v1, vcc_lo
	s_waitcnt vmcnt(1)
	buffer_store_dword v5, off, s[20:23], 0 offset:320 ; 4-byte Folded Spill
	buffer_store_dword v6, off, s[20:23], 0 offset:324 ; 4-byte Folded Spill
	s_waitcnt vmcnt(0)
	v_mul_f32_e32 v4, v3, v6
	v_fmac_f32_e32 v4, v2, v5
	v_mul_f32_e32 v2, v2, v6
	v_add_co_u32 v6, vcc_lo, 0x1800, v68
	v_add_co_ci_u32_e32 v7, vcc_lo, 0, v70, vcc_lo
	v_fma_f32 v5, v3, v5, -v2
	global_load_dwordx2 v[2:3], v[0:1], off
	v_add_co_u32 v0, vcc_lo, v0, s3
	global_load_dwordx2 v[9:10], v[6:7], off offset:128
	v_add_co_ci_u32_e32 v1, vcc_lo, s2, v1, vcc_lo
	s_waitcnt vmcnt(0)
	buffer_store_dword v9, off, s[20:23], 0 offset:304 ; 4-byte Folded Spill
	buffer_store_dword v10, off, s[20:23], 0 offset:308 ; 4-byte Folded Spill
	v_mul_f32_e32 v8, v3, v10
	v_fmac_f32_e32 v8, v2, v9
	v_mul_f32_e32 v2, v2, v10
	v_fma_f32 v9, v3, v9, -v2
	global_load_dwordx2 v[2:3], v[0:1], off
	ds_write_b64 v69, v[8:9] offset:6272
	v_add_co_u32 v8, vcc_lo, 0x3000, v68
	v_add_co_ci_u32_e32 v9, vcc_lo, 0, v70, vcc_lo
	v_add_co_u32 v0, vcc_lo, v0, s3
	v_add_co_ci_u32_e32 v1, vcc_lo, s2, v1, vcc_lo
	global_load_dwordx2 v[11:12], v[8:9], off offset:256
	s_waitcnt vmcnt(0)
	buffer_store_dword v11, off, s[20:23], 0 offset:208 ; 4-byte Folded Spill
	buffer_store_dword v12, off, s[20:23], 0 offset:212 ; 4-byte Folded Spill
	v_mul_f32_e32 v10, v3, v12
	v_fmac_f32_e32 v10, v2, v11
	v_mul_f32_e32 v2, v2, v12
	v_fma_f32 v11, v3, v11, -v2
	global_load_dwordx2 v[2:3], v[0:1], off
	ds_write_b64 v69, v[10:11] offset:12544
	v_add_co_u32 v10, vcc_lo, 0x4800, v68
	v_add_co_ci_u32_e32 v11, vcc_lo, 0, v70, vcc_lo
	v_add_co_u32 v0, vcc_lo, v0, s3
	v_add_co_ci_u32_e32 v1, vcc_lo, s2, v1, vcc_lo
	global_load_dwordx2 v[13:14], v[10:11], off offset:384
	;; [unrolled: 14-line block ×5, first 2 shown]
	s_waitcnt vmcnt(0)
	buffer_store_dword v13, off, s[20:23], 0 offset:160 ; 4-byte Folded Spill
	buffer_store_dword v14, off, s[20:23], 0 offset:164 ; 4-byte Folded Spill
	v_mul_f32_e32 v12, v3, v14
	v_fmac_f32_e32 v12, v2, v13
	v_mul_f32_e32 v2, v2, v14
	v_fma_f32 v13, v3, v13, -v2
	ds_write_b64 v69, v[12:13] offset:37632
	global_load_dwordx2 v[2:3], v[0:1], off
	global_load_dwordx2 v[13:14], v69, s[8:9] offset:1568
	v_add_co_u32 v0, vcc_lo, v0, s3
	v_add_co_ci_u32_e32 v1, vcc_lo, s2, v1, vcc_lo
	s_waitcnt vmcnt(0)
	buffer_store_dword v13, off, s[20:23], 0 offset:168 ; 4-byte Folded Spill
	buffer_store_dword v14, off, s[20:23], 0 offset:172 ; 4-byte Folded Spill
	v_mul_f32_e32 v12, v3, v14
	v_fmac_f32_e32 v12, v2, v13
	v_mul_f32_e32 v2, v2, v14
	v_fma_f32 v13, v3, v13, -v2
	ds_write2_b64 v69, v[4:5], v[12:13] offset1:196
	global_load_dwordx2 v[2:3], v[0:1], off
	global_load_dwordx2 v[4:5], v[6:7], off offset:1696
	v_add_co_u32 v0, vcc_lo, v0, s3
	v_add_co_ci_u32_e32 v1, vcc_lo, s2, v1, vcc_lo
	s_waitcnt vmcnt(0)
	buffer_store_dword v4, off, s[20:23], 0 offset:152 ; 4-byte Folded Spill
	buffer_store_dword v5, off, s[20:23], 0 offset:156 ; 4-byte Folded Spill
	v_mul_f32_e32 v18, v3, v5
	v_fmac_f32_e32 v18, v2, v4
	v_mul_f32_e32 v2, v2, v5
	v_fma_f32 v19, v3, v4, -v2
	global_load_dwordx2 v[2:3], v[0:1], off
	global_load_dwordx2 v[4:5], v[8:9], off offset:1824
	v_add_co_u32 v0, vcc_lo, v0, s3
	v_add_co_ci_u32_e32 v1, vcc_lo, s2, v1, vcc_lo
	s_waitcnt vmcnt(0)
	buffer_store_dword v4, off, s[20:23], 0 offset:144 ; 4-byte Folded Spill
	buffer_store_dword v5, off, s[20:23], 0 offset:148 ; 4-byte Folded Spill
	v_mul_f32_e32 v14, v3, v5
	v_fmac_f32_e32 v14, v2, v4
	v_mul_f32_e32 v2, v2, v5
	v_fma_f32 v15, v3, v4, -v2
	global_load_dwordx2 v[2:3], v[0:1], off
	global_load_dwordx2 v[4:5], v[10:11], off offset:1952
	v_add_co_u32 v0, vcc_lo, v0, s3
	v_add_co_ci_u32_e32 v1, vcc_lo, s2, v1, vcc_lo
	v_add_co_u32 v10, vcc_lo, 0x6800, v68
	v_add_co_ci_u32_e32 v11, vcc_lo, 0, v70, vcc_lo
	s_waitcnt vmcnt(0)
	buffer_store_dword v4, off, s[20:23], 0 offset:136 ; 4-byte Folded Spill
	buffer_store_dword v5, off, s[20:23], 0 offset:140 ; 4-byte Folded Spill
	v_mul_f32_e32 v6, v3, v5
	v_fmac_f32_e32 v6, v2, v4
	v_mul_f32_e32 v2, v2, v5
	v_fma_f32 v7, v3, v4, -v2
	global_load_dwordx2 v[4:5], v[10:11], off offset:32
	global_load_dwordx2 v[2:3], v[0:1], off
	v_add_co_u32 v0, vcc_lo, v0, s3
	v_add_co_ci_u32_e32 v1, vcc_lo, s2, v1, vcc_lo
	v_add_co_u32 v16, vcc_lo, 0x8000, v68
	v_add_co_ci_u32_e32 v17, vcc_lo, 0, v70, vcc_lo
	s_waitcnt vmcnt(1)
	buffer_store_dword v4, off, s[20:23], 0 offset:80 ; 4-byte Folded Spill
	buffer_store_dword v5, off, s[20:23], 0 offset:84 ; 4-byte Folded Spill
	s_waitcnt vmcnt(0)
	v_mul_f32_e32 v8, v3, v5
	v_fmac_f32_e32 v8, v2, v4
	v_mul_f32_e32 v2, v2, v5
	v_fma_f32 v9, v3, v4, -v2
	global_load_dwordx2 v[4:5], v[16:17], off offset:160
	global_load_dwordx2 v[2:3], v[0:1], off
	v_add_co_u32 v0, vcc_lo, v0, s3
	v_add_co_ci_u32_e32 v1, vcc_lo, s2, v1, vcc_lo
	s_waitcnt vmcnt(1)
	buffer_store_dword v4, off, s[20:23], 0 offset:104 ; 4-byte Folded Spill
	buffer_store_dword v5, off, s[20:23], 0 offset:108 ; 4-byte Folded Spill
	global_load_dwordx2 v[20:21], v[0:1], off
	s_waitcnt vmcnt(1)
	v_mul_f32_e32 v12, v3, v5
	v_fmac_f32_e32 v12, v2, v4
	v_mul_f32_e32 v2, v2, v5
	v_fma_f32 v13, v3, v4, -v2
	v_add_co_u32 v4, vcc_lo, 0x9800, v68
	v_add_co_ci_u32_e32 v5, vcc_lo, 0, v70, vcc_lo
	global_load_dwordx2 v[22:23], v[4:5], off offset:288
	s_waitcnt vmcnt(0)
	buffer_store_dword v22, off, s[20:23], 0 offset:96 ; 4-byte Folded Spill
	buffer_store_dword v23, off, s[20:23], 0 offset:100 ; 4-byte Folded Spill
	v_mul_f32_e32 v2, v21, v23
	v_mul_f32_e32 v3, v20, v23
	v_fmac_f32_e32 v2, v20, v22
	v_add_co_u32 v20, vcc_lo, v0, s4
	v_fma_f32 v3, v21, v22, -v3
	v_add_co_ci_u32_e32 v21, vcc_lo, s5, v1, vcc_lo
	v_add_co_u32 v0, vcc_lo, 0x800, v68
	v_add_co_ci_u32_e32 v1, vcc_lo, 0, v70, vcc_lo
	global_load_dwordx2 v[22:23], v[20:21], off
	v_add_co_u32 v20, vcc_lo, v20, s3
	global_load_dwordx2 v[24:25], v[0:1], off offset:1088
	v_add_co_ci_u32_e32 v21, vcc_lo, s2, v21, vcc_lo
	s_waitcnt vmcnt(0)
	buffer_store_dword v24, off, s[20:23], 0 offset:48 ; 4-byte Folded Spill
	buffer_store_dword v25, off, s[20:23], 0 offset:52 ; 4-byte Folded Spill
	v_mul_f32_e32 v0, v23, v25
	v_mul_f32_e32 v1, v22, v25
	v_fmac_f32_e32 v0, v22, v24
	v_fma_f32 v1, v23, v24, -v1
	v_add_co_u32 v24, vcc_lo, 0x2000, v68
	v_add_co_ci_u32_e32 v25, vcc_lo, 0, v70, vcc_lo
	global_load_dwordx2 v[22:23], v[20:21], off
	global_load_dwordx2 v[25:26], v[24:25], off offset:1216
	s_waitcnt vmcnt(0)
	buffer_store_dword v25, off, s[20:23], 0 offset:120 ; 4-byte Folded Spill
	buffer_store_dword v26, off, s[20:23], 0 offset:124 ; 4-byte Folded Spill
	v_mul_f32_e32 v24, v23, v26
	v_fmac_f32_e32 v24, v22, v25
	v_mul_f32_e32 v22, v22, v26
	v_fma_f32 v25, v23, v25, -v22
	v_add_nc_u32_e32 v22, 0x1e00, v69
	ds_write2_b64 v22, v[18:19], v[24:25] offset0:20 offset1:216
	v_add_co_u32 v18, vcc_lo, v20, s3
	v_add_co_ci_u32_e32 v19, vcc_lo, s2, v21, vcc_lo
	v_add_co_u32 v22, vcc_lo, 0x3800, v68
	v_add_co_ci_u32_e32 v23, vcc_lo, 0, v70, vcc_lo
	global_load_dwordx2 v[20:21], v[18:19], off
	global_load_dwordx2 v[23:24], v[22:23], off offset:1344
	s_waitcnt vmcnt(0)
	buffer_store_dword v23, off, s[20:23], 0 offset:128 ; 4-byte Folded Spill
	buffer_store_dword v24, off, s[20:23], 0 offset:132 ; 4-byte Folded Spill
	v_mul_f32_e32 v22, v21, v24
	v_fmac_f32_e32 v22, v20, v23
	v_mul_f32_e32 v20, v20, v24
	v_add_nc_u32_e32 v24, 0x8600, v69
	v_fma_f32 v23, v21, v23, -v20
	v_add_nc_u32_e32 v20, 0x3600, v69
	v_mov_b32_e32 v138, v24
	ds_write2_b64 v20, v[14:15], v[22:23] offset0:36 offset1:232
	v_add_co_u32 v14, vcc_lo, v18, s3
	v_add_co_ci_u32_e32 v15, vcc_lo, s2, v19, vcc_lo
	v_add_co_u32 v20, vcc_lo, 0x5000, v68
	v_add_co_ci_u32_e32 v21, vcc_lo, 0, v70, vcc_lo
	global_load_dwordx2 v[18:19], v[14:15], off
	v_mov_b32_e32 v156, v138
	global_load_dwordx2 v[21:22], v[20:21], off offset:1472
	s_waitcnt vmcnt(0)
	buffer_store_dword v21, off, s[20:23], 0 offset:112 ; 4-byte Folded Spill
	buffer_store_dword v22, off, s[20:23], 0 offset:116 ; 4-byte Folded Spill
	v_mul_f32_e32 v20, v19, v22
	v_fmac_f32_e32 v20, v18, v21
	v_mul_f32_e32 v18, v18, v22
	v_fma_f32 v21, v19, v21, -v18
	v_add_nc_u32_e32 v18, 0x4e00, v69
	ds_write2_b64 v18, v[6:7], v[20:21] offset0:52 offset1:248
	v_add_co_u32 v6, vcc_lo, v14, s3
	v_add_co_ci_u32_e32 v7, vcc_lo, s2, v15, vcc_lo
	global_load_dwordx2 v[14:15], v[6:7], off
	global_load_dwordx2 v[18:19], v[10:11], off offset:1600
	v_add_co_u32 v6, vcc_lo, v6, s3
	v_add_co_ci_u32_e32 v7, vcc_lo, s2, v7, vcc_lo
	s_waitcnt vmcnt(0)
	buffer_store_dword v18, off, s[20:23], 0 offset:88 ; 4-byte Folded Spill
	buffer_store_dword v19, off, s[20:23], 0 offset:92 ; 4-byte Folded Spill
	v_mul_f32_e32 v10, v15, v19
	v_mul_f32_e32 v11, v14, v19
	v_fmac_f32_e32 v10, v14, v18
	v_fma_f32 v11, v15, v18, -v11
	v_add_nc_u32_e32 v14, 0x6800, v69
	ds_write2_b64 v14, v[8:9], v[10:11] offset0:4 offset1:200
	global_load_dwordx2 v[8:9], v[6:7], off
	global_load_dwordx2 v[14:15], v[16:17], off offset:1728
	v_add_co_u32 v6, vcc_lo, v6, s3
	v_add_co_ci_u32_e32 v7, vcc_lo, s2, v7, vcc_lo
	v_add_nc_u32_e32 v16, 0x6e00, v69
	s_waitcnt vmcnt(0)
	buffer_store_dword v14, off, s[20:23], 0 offset:56 ; 4-byte Folded Spill
	buffer_store_dword v15, off, s[20:23], 0 offset:60 ; 4-byte Folded Spill
	v_mov_b32_e32 v140, v16
	v_mov_b32_e32 v157, v140
	v_mul_f32_e32 v10, v9, v15
	v_fmac_f32_e32 v10, v8, v14
	v_mul_f32_e32 v8, v8, v15
	v_fma_f32 v11, v9, v14, -v8
	v_add_nc_u32_e32 v8, 0x8000, v69
	ds_write2_b64 v8, v[12:13], v[10:11] offset0:20 offset1:216
	global_load_dwordx2 v[8:9], v[6:7], off
	global_load_dwordx2 v[10:11], v[4:5], off offset:1856
	s_waitcnt vmcnt(0)
	buffer_store_dword v10, off, s[20:23], 0 offset:72 ; 4-byte Folded Spill
	buffer_store_dword v11, off, s[20:23], 0 offset:76 ; 4-byte Folded Spill
	v_mul_f32_e32 v4, v9, v11
	v_mul_f32_e32 v5, v8, v11
	v_fmac_f32_e32 v4, v8, v10
	v_fma_f32 v5, v9, v10, -v5
	v_add_nc_u32_e32 v8, 0x9800, v69
	ds_write2_b64 v8, v[2:3], v[4:5] offset0:36 offset1:232
	v_add_co_u32 v2, vcc_lo, v6, s4
	v_add_co_ci_u32_e32 v3, vcc_lo, s5, v7, vcc_lo
	v_add_co_u32 v6, vcc_lo, 0x1000, v68
	v_add_co_ci_u32_e32 v7, vcc_lo, 0, v70, vcc_lo
	global_load_dwordx2 v[4:5], v[2:3], off
	s_mul_i32 s4, s1, 0x1880
	s_mul_hi_u32 s5, s0, 0x1880
	global_load_dwordx2 v[7:8], v[6:7], off offset:608
	s_add_i32 s4, s5, s4
	s_mul_i32 s5, s0, 0x1880
	s_waitcnt vmcnt(0)
	buffer_store_dword v7, off, s[20:23], 0 offset:64 ; 4-byte Folded Spill
	buffer_store_dword v8, off, s[20:23], 0 offset:68 ; 4-byte Folded Spill
	v_mul_f32_e32 v6, v5, v8
	v_fmac_f32_e32 v6, v4, v7
	v_mul_f32_e32 v4, v4, v8
	v_add_nc_u32_e32 v8, 0x5400, v69
	v_fma_f32 v7, v5, v7, -v4
	v_add_nc_u32_e32 v4, 0xc00, v69
	v_mov_b32_e32 v141, v8
	ds_write2_b64 v4, v[0:1], v[6:7] offset0:8 offset1:204
	v_add_co_u32 v0, vcc_lo, v2, s3
	v_add_co_ci_u32_e32 v1, vcc_lo, s2, v3, vcc_lo
	v_mov_b32_e32 v154, v4
	v_add_co_u32 v4, vcc_lo, 0x2800, v68
	v_add_co_ci_u32_e32 v5, vcc_lo, 0, v70, vcc_lo
	global_load_dwordx2 v[2:3], v[0:1], off
	v_add_co_u32 v0, vcc_lo, v0, s3
	global_load_dwordx2 v[5:6], v[4:5], off offset:736
	v_add_co_ci_u32_e32 v1, vcc_lo, s2, v1, vcc_lo
	v_mov_b32_e32 v158, v141
	s_waitcnt vmcnt(0)
	buffer_store_dword v5, off, s[20:23], 0 offset:40 ; 4-byte Folded Spill
	buffer_store_dword v6, off, s[20:23], 0 offset:44 ; 4-byte Folded Spill
	v_mul_f32_e32 v4, v3, v6
	v_fmac_f32_e32 v4, v2, v5
	v_mul_f32_e32 v2, v2, v6
	v_fma_f32 v5, v3, v5, -v2
	global_load_dwordx2 v[2:3], v[0:1], off
	ds_write_b64 v69, v[4:5] offset:10976
	v_add_co_u32 v4, vcc_lo, 0x4000, v68
	v_add_co_ci_u32_e32 v5, vcc_lo, 0, v70, vcc_lo
	v_add_co_u32 v0, vcc_lo, v0, s3
	v_add_co_ci_u32_e32 v1, vcc_lo, s2, v1, vcc_lo
	global_load_dwordx2 v[5:6], v[4:5], off offset:864
	s_waitcnt vmcnt(0)
	buffer_store_dword v5, off, s[20:23], 0 offset:24 ; 4-byte Folded Spill
	buffer_store_dword v6, off, s[20:23], 0 offset:28 ; 4-byte Folded Spill
	v_mul_f32_e32 v4, v3, v6
	v_fmac_f32_e32 v4, v2, v5
	v_mul_f32_e32 v2, v2, v6
	v_fma_f32 v5, v3, v5, -v2
	global_load_dwordx2 v[2:3], v[0:1], off
	ds_write_b64 v69, v[4:5] offset:17248
	v_add_co_u32 v4, vcc_lo, 0x5800, v68
	v_add_co_ci_u32_e32 v5, vcc_lo, 0, v70, vcc_lo
	v_add_co_u32 v0, vcc_lo, v0, s3
	v_add_co_ci_u32_e32 v1, vcc_lo, s2, v1, vcc_lo
	global_load_dwordx2 v[5:6], v[4:5], off offset:992
	;; [unrolled: 14-line block ×4, first 2 shown]
	s_waitcnt vmcnt(0)
	buffer_store_dword v5, off, s[20:23], 0 ; 4-byte Folded Spill
	buffer_store_dword v6, off, s[20:23], 0 offset:4 ; 4-byte Folded Spill
	global_load_dwordx2 v[0:1], v[0:1], off
	v_mul_f32_e32 v4, v3, v6
	v_fmac_f32_e32 v4, v2, v5
	v_mul_f32_e32 v2, v2, v6
	v_fma_f32 v5, v3, v5, -v2
	v_add_co_u32 v2, vcc_lo, 0xa000, v68
	v_add_co_ci_u32_e32 v3, vcc_lo, 0, v70, vcc_lo
	ds_write_b64 v69, v[4:5] offset:36064
	global_load_dwordx2 v[3:4], v[2:3], off offset:1376
	s_waitcnt vmcnt(0)
	buffer_store_dword v3, off, s[20:23], 0 offset:8 ; 4-byte Folded Spill
	buffer_store_dword v4, off, s[20:23], 0 offset:12 ; 4-byte Folded Spill
	v_mul_f32_e32 v2, v1, v4
	v_fmac_f32_e32 v2, v0, v3
	v_mul_f32_e32 v0, v0, v4
	v_add_nc_u32_e32 v4, 0x2400, v69
	v_fma_f32 v3, v1, v3, -v0
	v_add_nc_u32_e32 v0, 0x3000, v69
	v_mov_b32_e32 v153, v4
	ds_write_b64 v69, v[2:3] offset:42336
	s_waitcnt lgkmcnt(0)
	s_waitcnt_vscnt null, 0x0
	s_barrier
	buffer_gl0_inv
	ds_read2_b64 v[40:43], v0 offset0:32 offset1:228
	v_mov_b32_e32 v146, v0
	v_add_nc_u32_e32 v0, 0x4800, v69
	ds_read2_b64 v[44:47], v191 offset0:16 offset1:212
	ds_read2_b64 v[36:39], v190 offset1:196
	ds_read2_b64 v[28:31], v69 offset1:196
	ds_read2_b64 v[20:23], v4 offset0:24 offset1:220
	ds_read2_b64 v[32:35], v0 offset0:48 offset1:244
	v_mov_b32_e32 v145, v0
	v_add_nc_u32_e32 v0, 0x7a00, v69
	v_add_nc_u32_e32 v4, 0x3c00, v69
	v_mov_b32_e32 v163, v146
	v_mov_b32_e32 v162, v145
	ds_read2_b64 v[48:51], v0 offset0:16 offset1:212
	v_mov_b32_e32 v143, v0
	v_add_nc_u32_e32 v0, 0x9200, v69
	ds_read2_b64 v[12:15], v4 offset0:40 offset1:236
	v_mov_b32_e32 v142, v4
	ds_read2_b64 v[4:7], v8 offset0:56 offset1:252
	ds_read2_b64 v[8:11], v16 offset0:8 offset1:204
	;; [unrolled: 1-line block ×5, first 2 shown]
	v_mov_b32_e32 v147, v0
	ds_read2_b64 v[0:3], v154 offset0:8 offset1:204
	s_waitcnt lgkmcnt(0)
	s_barrier
	buffer_gl0_inv
	v_mov_b32_e32 v159, v142
	v_mov_b32_e32 v160, v143
	;; [unrolled: 1-line block ×3, first 2 shown]
	v_add_f32_e32 v56, v44, v52
	v_sub_f32_e32 v44, v44, v52
	v_add_f32_e32 v52, v40, v48
	v_add_f32_e32 v57, v45, v53
	v_sub_f32_e32 v45, v45, v53
	v_add_f32_e32 v53, v41, v49
	v_sub_f32_e32 v40, v40, v48
	;; [unrolled: 2-line block ×6, first 2 shown]
	v_sub_f32_e32 v56, v56, v48
	v_sub_f32_e32 v52, v48, v52
	v_add_f32_e32 v36, v48, v36
	v_sub_f32_e32 v59, v53, v57
	v_sub_f32_e32 v57, v57, v49
	;; [unrolled: 1-line block ×3, first 2 shown]
	v_add_f32_e32 v60, v32, v40
	v_add_f32_e32 v61, v33, v41
	v_sub_f32_e32 v62, v32, v40
	v_sub_f32_e32 v63, v33, v41
	;; [unrolled: 1-line block ×4, first 2 shown]
	v_add_f32_e32 v37, v49, v37
	v_add_f32_e32 v48, v28, v36
	v_mul_f32_e32 v28, 0x3f4a47b2, v56
	v_mul_f32_e32 v56, 0x3d64c772, v52
	v_sub_f32_e32 v32, v44, v32
	v_sub_f32_e32 v33, v45, v33
	v_add_f32_e32 v44, v60, v44
	v_add_f32_e32 v45, v61, v45
	;; [unrolled: 1-line block ×3, first 2 shown]
	v_mul_f32_e32 v29, 0x3f4a47b2, v57
	v_mul_f32_e32 v57, 0x3d64c772, v53
	;; [unrolled: 1-line block ×6, first 2 shown]
	v_fmamk_f32 v36, v36, 0xbf955555, v48
	v_fma_f32 v56, 0x3f3bfb3b, v58, -v56
	v_fmamk_f32 v37, v37, 0xbf955555, v49
	v_fmamk_f32 v52, v52, 0x3d64c772, v28
	;; [unrolled: 1-line block ×3, first 2 shown]
	v_fma_f32 v57, 0x3f3bfb3b, v59, -v57
	v_fma_f32 v28, 0xbf3bfb3b, v58, -v28
	;; [unrolled: 1-line block ×3, first 2 shown]
	v_fmamk_f32 v58, v32, 0x3eae86e6, v60
	v_fmamk_f32 v59, v33, 0x3eae86e6, v61
	v_fma_f32 v61, 0x3f5ff5aa, v41, -v61
	v_fmac_f32_e32 v62, 0xbeae86e6, v32
	v_fmac_f32_e32 v63, 0xbeae86e6, v33
	v_add_f32_e32 v32, v56, v36
	v_add_f32_e32 v56, v46, v54
	v_sub_f32_e32 v46, v46, v54
	v_add_f32_e32 v54, v42, v50
	v_fma_f32 v60, 0x3f5ff5aa, v40, -v60
	v_add_f32_e32 v65, v53, v37
	v_add_f32_e32 v33, v57, v37
	;; [unrolled: 1-line block ×4, first 2 shown]
	v_fmac_f32_e32 v58, 0x3ee1c552, v44
	v_fmac_f32_e32 v61, 0x3ee1c552, v45
	;; [unrolled: 1-line block ×4, first 2 shown]
	v_add_f32_e32 v57, v47, v55
	v_sub_f32_e32 v47, v47, v55
	v_add_f32_e32 v55, v43, v51
	v_sub_f32_e32 v42, v42, v50
	v_sub_f32_e32 v43, v43, v51
	v_add_f32_e32 v50, v34, v38
	v_add_f32_e32 v51, v35, v39
	v_sub_f32_e32 v34, v38, v34
	v_sub_f32_e32 v35, v39, v35
	v_add_f32_e32 v38, v54, v56
	v_add_f32_e32 v64, v52, v36
	v_fmac_f32_e32 v59, 0x3ee1c552, v45
	v_fmac_f32_e32 v60, 0x3ee1c552, v44
	v_sub_f32_e32 v53, v65, v58
	v_add_f32_e32 v40, v63, v28
	v_sub_f32_e32 v41, v29, v62
	v_sub_f32_e32 v44, v32, v61
	v_add_f32_e32 v32, v61, v32
	v_sub_f32_e32 v36, v28, v63
	v_add_f32_e32 v37, v62, v29
	v_add_f32_e32 v29, v58, v65
	;; [unrolled: 1-line block ×3, first 2 shown]
	v_sub_f32_e32 v58, v54, v56
	v_sub_f32_e32 v56, v56, v50
	;; [unrolled: 1-line block ×3, first 2 shown]
	v_add_f32_e32 v61, v35, v43
	v_sub_f32_e32 v63, v35, v43
	v_add_f32_e32 v38, v50, v38
	v_add_f32_e32 v52, v64, v59
	;; [unrolled: 1-line block ×3, first 2 shown]
	v_sub_f32_e32 v33, v33, v60
	v_sub_f32_e32 v28, v64, v59
	;; [unrolled: 1-line block ×5, first 2 shown]
	v_add_f32_e32 v60, v34, v42
	v_sub_f32_e32 v62, v34, v42
	v_sub_f32_e32 v35, v47, v35
	;; [unrolled: 1-line block ×3, first 2 shown]
	v_add_f32_e32 v39, v51, v39
	v_add_f32_e32 v47, v61, v47
	v_add_f32_e32 v50, v30, v38
	v_mul_f32_e32 v30, 0x3f4a47b2, v56
	v_mul_f32_e32 v56, 0x3d64c772, v54
	;; [unrolled: 1-line block ×3, first 2 shown]
	v_sub_f32_e32 v34, v46, v34
	v_sub_f32_e32 v42, v42, v46
	v_add_f32_e32 v46, v60, v46
	v_add_f32_e32 v51, v31, v39
	v_mul_f32_e32 v31, 0x3f4a47b2, v57
	v_mul_f32_e32 v57, 0x3d64c772, v55
	;; [unrolled: 1-line block ×4, first 2 shown]
	v_fmamk_f32 v38, v38, 0xbf955555, v50
	v_fma_f32 v56, 0x3f3bfb3b, v58, -v56
	v_fma_f32 v43, 0x3f5ff5aa, v43, -v61
	v_mul_f32_e32 v62, 0xbf5ff5aa, v42
	v_fmamk_f32 v39, v39, 0xbf955555, v51
	v_fmamk_f32 v54, v54, 0x3d64c772, v30
	v_fma_f32 v57, 0x3f3bfb3b, v59, -v57
	v_fma_f32 v30, 0xbf3bfb3b, v58, -v30
	;; [unrolled: 1-line block ×3, first 2 shown]
	v_add_f32_e32 v56, v56, v38
	v_fmac_f32_e32 v43, 0x3ee1c552, v47
	v_fmamk_f32 v55, v55, 0x3d64c772, v31
	v_fma_f32 v31, 0xbf3bfb3b, v59, -v31
	v_fmamk_f32 v58, v34, 0x3eae86e6, v60
	v_fmamk_f32 v59, v35, 0x3eae86e6, v61
	v_fmac_f32_e32 v62, 0xbeae86e6, v34
	v_fmac_f32_e32 v63, 0xbeae86e6, v35
	v_add_f32_e32 v60, v54, v38
	v_add_f32_e32 v57, v57, v39
	;; [unrolled: 1-line block ×3, first 2 shown]
	v_fmac_f32_e32 v42, 0x3ee1c552, v46
	v_sub_f32_e32 v34, v56, v43
	v_add_f32_e32 v38, v43, v56
	v_add_f32_e32 v56, v20, v24
	v_sub_f32_e32 v20, v20, v24
	v_add_f32_e32 v24, v12, v16
	v_add_f32_e32 v61, v55, v39
	;; [unrolled: 1-line block ×3, first 2 shown]
	v_fmac_f32_e32 v58, 0x3ee1c552, v46
	v_fmac_f32_e32 v59, 0x3ee1c552, v47
	;; [unrolled: 1-line block ×3, first 2 shown]
	v_add_f32_e32 v35, v42, v57
	v_sub_f32_e32 v39, v57, v42
	v_add_f32_e32 v57, v21, v25
	v_sub_f32_e32 v21, v21, v25
	;; [unrolled: 2-line block ×3, first 2 shown]
	v_sub_f32_e32 v13, v13, v17
	v_add_f32_e32 v16, v4, v8
	v_add_f32_e32 v17, v5, v9
	v_sub_f32_e32 v4, v8, v4
	v_sub_f32_e32 v5, v9, v5
	v_add_f32_e32 v8, v24, v56
	v_fmac_f32_e32 v62, 0x3ee1c552, v46
	v_add_f32_e32 v54, v60, v59
	v_sub_f32_e32 v55, v61, v58
	v_add_f32_e32 v30, v63, v64
	v_sub_f32_e32 v42, v64, v63
	v_sub_f32_e32 v46, v60, v59
	v_add_f32_e32 v47, v58, v61
	v_add_f32_e32 v9, v25, v57
	v_sub_f32_e32 v58, v24, v56
	v_sub_f32_e32 v59, v25, v57
	;; [unrolled: 1-line block ×6, first 2 shown]
	v_add_f32_e32 v60, v4, v12
	v_add_f32_e32 v61, v5, v13
	v_sub_f32_e32 v63, v5, v13
	v_add_f32_e32 v8, v16, v8
	v_sub_f32_e32 v31, v65, v62
	;; [unrolled: 2-line block ×3, first 2 shown]
	v_sub_f32_e32 v4, v20, v4
	v_sub_f32_e32 v5, v21, v5
	;; [unrolled: 1-line block ×4, first 2 shown]
	v_add_f32_e32 v9, v17, v9
	v_add_f32_e32 v16, v60, v20
	;; [unrolled: 1-line block ×4, first 2 shown]
	v_mul_f32_e32 v20, 0x3f4a47b2, v56
	v_mul_f32_e32 v21, 0x3f4a47b2, v57
	;; [unrolled: 1-line block ×5, first 2 shown]
	v_add_f32_e32 v1, v1, v9
	v_mul_f32_e32 v60, 0xbf08b237, v62
	v_mul_f32_e32 v62, 0xbf5ff5aa, v12
	v_fmamk_f32 v8, v8, 0xbf955555, v0
	v_fmamk_f32 v25, v25, 0x3d64c772, v21
	v_fma_f32 v56, 0x3f3bfb3b, v58, -v56
	v_fma_f32 v57, 0x3f3bfb3b, v59, -v57
	v_fma_f32 v21, 0xbf3bfb3b, v59, -v21
	v_fmamk_f32 v59, v5, 0x3eae86e6, v61
	v_fma_f32 v61, 0x3f5ff5aa, v13, -v61
	v_mul_f32_e32 v63, 0xbf5ff5aa, v13
	v_fmamk_f32 v9, v9, 0xbf955555, v1
	v_fmamk_f32 v24, v24, 0x3d64c772, v20
	v_fma_f32 v20, 0xbf3bfb3b, v58, -v20
	v_fmamk_f32 v58, v4, 0x3eae86e6, v60
	v_fma_f32 v60, 0x3f5ff5aa, v12, -v60
	v_fmac_f32_e32 v62, 0xbeae86e6, v4
	v_add_f32_e32 v56, v56, v8
	v_fmac_f32_e32 v61, 0x3ee1c552, v17
	v_fmac_f32_e32 v63, 0xbeae86e6, v5
	v_add_f32_e32 v57, v57, v9
	v_fmac_f32_e32 v58, 0x3ee1c552, v16
	v_fmac_f32_e32 v60, 0x3ee1c552, v16
	;; [unrolled: 1-line block ×3, first 2 shown]
	v_sub_f32_e32 v12, v56, v61
	v_add_f32_e32 v16, v61, v56
	v_add_f32_e32 v56, v22, v26
	v_sub_f32_e32 v22, v22, v26
	v_add_f32_e32 v26, v14, v18
	v_add_f32_e32 v24, v24, v8
	v_add_f32_e32 v25, v25, v9
	v_add_f32_e32 v20, v20, v8
	v_fmac_f32_e32 v59, 0x3ee1c552, v17
	v_fmac_f32_e32 v63, 0x3ee1c552, v17
	v_add_f32_e32 v13, v60, v57
	v_sub_f32_e32 v17, v57, v60
	v_add_f32_e32 v57, v23, v27
	v_sub_f32_e32 v23, v23, v27
	v_add_f32_e32 v27, v15, v19
	v_sub_f32_e32 v14, v14, v18
	v_sub_f32_e32 v15, v15, v19
	v_add_f32_e32 v18, v6, v10
	v_add_f32_e32 v19, v7, v11
	v_sub_f32_e32 v6, v10, v6
	v_sub_f32_e32 v7, v11, v7
	v_add_f32_e32 v10, v26, v56
	v_add_f32_e32 v21, v21, v9
	;; [unrolled: 1-line block ×3, first 2 shown]
	v_sub_f32_e32 v5, v25, v58
	v_add_f32_e32 v8, v63, v20
	v_sub_f32_e32 v20, v20, v63
	v_sub_f32_e32 v24, v24, v59
	v_add_f32_e32 v25, v58, v25
	v_add_f32_e32 v11, v27, v57
	v_sub_f32_e32 v58, v26, v56
	v_sub_f32_e32 v59, v27, v57
	;; [unrolled: 1-line block ×6, first 2 shown]
	v_add_f32_e32 v60, v6, v14
	v_add_f32_e32 v61, v7, v15
	v_sub_f32_e32 v63, v7, v15
	v_add_f32_e32 v10, v18, v10
	v_sub_f32_e32 v9, v21, v62
	;; [unrolled: 2-line block ×3, first 2 shown]
	v_sub_f32_e32 v6, v22, v6
	v_sub_f32_e32 v7, v23, v7
	;; [unrolled: 1-line block ×4, first 2 shown]
	v_add_f32_e32 v11, v19, v11
	v_add_f32_e32 v18, v60, v22
	;; [unrolled: 1-line block ×4, first 2 shown]
	v_mul_f32_e32 v22, 0x3f4a47b2, v56
	v_mul_f32_e32 v23, 0x3f4a47b2, v57
	;; [unrolled: 1-line block ×7, first 2 shown]
	v_fmamk_f32 v10, v10, 0xbf955555, v2
	v_fmamk_f32 v27, v27, 0x3d64c772, v23
	v_fma_f32 v56, 0x3f3bfb3b, v58, -v56
	v_fma_f32 v57, 0x3f3bfb3b, v59, -v57
	;; [unrolled: 1-line block ×3, first 2 shown]
	v_fmamk_f32 v59, v7, 0x3eae86e6, v61
	v_fma_f32 v61, 0x3f5ff5aa, v15, -v61
	v_fmamk_f32 v26, v26, 0x3d64c772, v22
	v_fma_f32 v22, 0xbf3bfb3b, v58, -v22
	;; [unrolled: 2-line block ×3, first 2 shown]
	v_fmac_f32_e32 v62, 0xbeae86e6, v6
	v_add_f32_e32 v56, v56, v10
	v_fmac_f32_e32 v61, 0x3ee1c552, v19
	v_fmac_f32_e32 v58, 0x3ee1c552, v18
	;; [unrolled: 1-line block ×4, first 2 shown]
	v_add_f32_e32 v3, v3, v11
	v_sub_f32_e32 v14, v56, v61
	v_add_f32_e32 v18, v61, v56
	v_mul_lo_u16 v56, v72, 7
	v_mul_f32_e32 v63, 0xbf5ff5aa, v15
	v_fmamk_f32 v11, v11, 0xbf955555, v3
	v_add_f32_e32 v26, v26, v10
	v_fmac_f32_e32 v59, 0x3ee1c552, v19
	v_lshlrev_b32_sdwa v56, v130, v56 dst_sel:DWORD dst_unused:UNUSED_PAD src0_sel:DWORD src1_sel:WORD_0
	v_fmac_f32_e32 v63, 0xbeae86e6, v7
	v_add_f32_e32 v27, v27, v11
	v_add_f32_e32 v57, v57, v11
	;; [unrolled: 1-line block ×3, first 2 shown]
	ds_write2_b64 v56, v[48:49], v[52:53] offset1:1
	buffer_store_dword v56, off, s[20:23], 0 offset:232 ; 4-byte Folded Spill
	ds_write2_b64 v56, v[40:41], v[44:45] offset0:2 offset1:3
	ds_write2_b64 v56, v[32:33], v[36:37] offset0:4 offset1:5
	ds_write_b64 v56, v[28:29] offset:48
	v_mul_u32_u24_e32 v28, 7, v71
	v_add_f32_e32 v23, v23, v11
	v_fmac_f32_e32 v63, 0x3ee1c552, v19
	v_add_f32_e32 v6, v26, v59
	v_sub_f32_e32 v7, v27, v58
	v_lshlrev_b32_e32 v28, 3, v28
	v_sub_f32_e32 v11, v23, v62
	v_add_f32_e32 v10, v63, v22
	v_add_f32_e32 v15, v60, v57
	v_sub_f32_e32 v19, v57, v60
	ds_write2_b64 v28, v[50:51], v[54:55] offset1:1
	buffer_store_dword v28, off, s[20:23], 0 offset:228 ; 4-byte Folded Spill
	ds_write2_b64 v28, v[30:31], v[34:35] offset0:2 offset1:3
	ds_write2_b64 v28, v[38:39], v[42:43] offset0:4 offset1:5
	ds_write_b64 v28, v[46:47] offset:48
	v_mul_u32_u24_e32 v28, 7, v128
	v_sub_f32_e32 v22, v22, v63
	v_add_f32_e32 v23, v62, v23
	v_sub_f32_e32 v26, v26, v59
	v_add_f32_e32 v27, v58, v27
	v_lshlrev_b32_e32 v28, 3, v28
	buffer_store_dword v28, off, s[20:23], 0 offset:224 ; 4-byte Folded Spill
	ds_write2_b64 v28, v[0:1], v[4:5] offset1:1
	ds_write2_b64 v28, v[8:9], v[12:13] offset0:2 offset1:3
	ds_write2_b64 v28, v[16:17], v[20:21] offset0:4 offset1:5
	ds_write_b64 v28, v[24:25] offset:48
	v_mul_u32_u24_e32 v0, 7, v129
	v_lshlrev_b32_e32 v0, 3, v0
	buffer_store_dword v0, off, s[20:23], 0 offset:220 ; 4-byte Folded Spill
	ds_write2_b64 v0, v[2:3], v[6:7] offset1:1
	ds_write2_b64 v0, v[10:11], v[14:15] offset0:2 offset1:3
	ds_write2_b64 v0, v[18:19], v[22:23] offset0:4 offset1:5
	ds_write_b64 v0, v[26:27] offset:48
	v_mul_lo_u16 v0, v73, 37
	s_waitcnt lgkmcnt(0)
	s_waitcnt_vscnt null, 0x0
	s_barrier
	buffer_gl0_inv
	ds_read2_b64 v[32:35], v69 offset1:196
	ds_read2_b64 v[8:11], v153 offset0:24 offset1:220
	ds_read2_b64 v[4:7], v141 offset0:56 offset1:252
	;; [unrolled: 1-line block ×6, first 2 shown]
	ds_read2_b64 v[26:29], v190 offset1:196
	ds_read2_b64 v[56:59], v142 offset0:40 offset1:236
	ds_read2_b64 v[36:39], v147 offset0:32 offset1:228
	;; [unrolled: 1-line block ×6, first 2 shown]
	v_lshrrev_b16 v0, 8, v0
	v_mov_b32_e32 v22, 0x2493
	v_sub_nc_u16 v1, v72, v0
	v_mul_u32_u24_sdwa v23, v128, v22 dst_sel:DWORD dst_unused:UNUSED_PAD src0_sel:WORD_0 src1_sel:DWORD
	v_lshrrev_b16 v1, 1, v1
	v_lshrrev_b32_e32 v23, 16, v23
	v_and_b32_e32 v1, 0x7f, v1
	v_sub_nc_u16 v24, v128, v23
	v_add_nc_u16 v0, v1, v0
	v_lshrrev_b16 v24, 1, v24
	v_lshrrev_b16 v75, 2, v0
	v_add_nc_u16 v23, v24, v23
	v_mul_lo_u16 v0, v75, 7
	v_sub_nc_u16 v0, v72, v0
	v_and_b32_e32 v74, 0xff, v0
	v_mad_u64_u32 v[0:1], null, v74, 24, s[10:11]
	s_clause 0x1
	global_load_dwordx2 v[20:21], v[0:1], off offset:16
	global_load_dwordx4 v[238:241], v[0:1], off
	s_waitcnt vmcnt(1)
	buffer_store_dword v20, off, s[20:23], 0 offset:344 ; 4-byte Folded Spill
	buffer_store_dword v21, off, s[20:23], 0 offset:348 ; 4-byte Folded Spill
	s_waitcnt vmcnt(0) lgkmcnt(12)
	v_mul_f32_e32 v0, v11, v239
	s_waitcnt lgkmcnt(11)
	v_mul_f32_e32 v2, v5, v241
	v_fma_f32 v1, v10, v238, -v0
	v_mul_f32_e32 v0, v10, v239
	v_fma_f32 v10, v4, v240, -v2
	v_mul_f32_e32 v4, v4, v241
	v_fmac_f32_e32 v0, v11, v238
	v_sub_f32_e32 v10, v32, v10
	v_fmac_f32_e32 v4, v5, v240
	v_mul_u32_u24_sdwa v5, v71, v22 dst_sel:DWORD dst_unused:UNUSED_PAD src0_sel:WORD_0 src1_sel:DWORD
	v_fma_f32 v32, v32, 2.0, -v10
	v_sub_f32_e32 v4, v33, v4
	v_lshrrev_b32_e32 v5, 16, v5
	v_fma_f32 v33, v33, 2.0, -v4
	v_sub_nc_u16 v11, v71, v5
	v_lshrrev_b16 v11, 1, v11
	v_add_nc_u16 v5, v11, v5
	v_lshrrev_b16 v76, 2, v5
	v_mul_lo_u16 v5, v76, 7
	v_sub_nc_u16 v77, v71, v5
	v_mul_lo_u16 v5, v77, 24
	v_and_b32_e32 v5, 0xffff, v5
	s_waitcnt lgkmcnt(10)
	v_mul_f32_e32 v2, v51, v21
	v_fma_f32 v3, v50, v20, -v2
	v_mul_f32_e32 v2, v50, v21
	v_sub_f32_e32 v3, v1, v3
	v_fmac_f32_e32 v2, v51, v20
	v_add_co_u32 v20, s2, s10, v5
	v_add_co_ci_u32_e64 v21, null, s11, 0, s2
	s_clause 0x1
	global_load_dwordx2 v[232:233], v[20:21], off offset:16
	global_load_dwordx4 v[206:209], v[20:21], off
	v_sub_f32_e32 v2, v0, v2
	v_fma_f32 v1, v1, 2.0, -v3
	v_add_f32_e32 v79, v4, v3
	v_fma_f32 v0, v0, 2.0, -v2
	v_sub_f32_e32 v78, v10, v2
	v_fma_f32 v81, v4, 2.0, -v79
	v_fma_f32 v80, v10, 2.0, -v78
	s_waitcnt vmcnt(1) lgkmcnt(8)
	v_mul_f32_e32 v21, v60, v233
	s_waitcnt vmcnt(0)
	v_mul_f32_e32 v20, v7, v209
	v_mul_f32_e32 v5, v65, v207
	;; [unrolled: 1-line block ×3, first 2 shown]
	v_fmac_f32_e32 v21, v61, v232
	v_fma_f32 v20, v6, v208, -v20
	v_mul_f32_e32 v6, v6, v209
	v_fma_f32 v5, v64, v206, -v5
	v_fmac_f32_e32 v11, v65, v206
	v_fmac_f32_e32 v6, v7, v208
	v_mul_f32_e32 v7, v61, v233
	v_fma_f32 v7, v60, v232, -v7
	v_lshrrev_b16 v60, 2, v23
	v_sub_f32_e32 v4, v5, v7
	v_mul_lo_u16 v23, v60, 7
	v_fma_f32 v5, v5, 2.0, -v4
	v_sub_nc_u16 v61, v128, v23
	v_mul_lo_u16 v23, v61, 24
	v_and_b32_e32 v23, 0xffff, v23
	v_add_co_u32 v23, s2, s10, v23
	v_add_co_ci_u32_e64 v24, null, s11, 0, s2
	s_clause 0x1
	global_load_dwordx2 v[230:231], v[23:24], off offset:16
	global_load_dwordx4 v[242:245], v[23:24], off
	s_waitcnt vmcnt(1)
	v_mul_f32_e32 v65, v62, v231
	s_waitcnt vmcnt(0)
	v_mul_f32_e32 v23, v67, v243
	s_waitcnt lgkmcnt(6)
	v_mul_f32_e32 v51, v26, v245
	v_mul_f32_e32 v25, v66, v243
	v_fmac_f32_e32 v65, v63, v230
	v_fma_f32 v24, v66, v242, -v23
	v_mul_f32_e32 v23, v27, v245
	v_fmac_f32_e32 v51, v27, v244
	v_fmac_f32_e32 v25, v67, v242
	v_fma_f32 v50, v26, v244, -v23
	v_mul_f32_e32 v23, v63, v231
	v_fma_f32 v64, v62, v230, -v23
	v_mul_u32_u24_sdwa v23, v129, v22 dst_sel:DWORD dst_unused:UNUSED_PAD src0_sel:WORD_0 src1_sel:DWORD
	v_lshrrev_b32_e32 v23, 16, v23
	v_sub_nc_u16 v26, v129, v23
	v_lshrrev_b16 v26, 1, v26
	v_add_nc_u16 v23, v26, v23
	v_lshrrev_b16 v62, 2, v23
	v_mul_lo_u16 v23, v62, 7
	v_sub_nc_u16 v63, v129, v23
	v_mul_lo_u16 v23, v63, 24
	v_and_b32_e32 v23, 0xffff, v23
	v_add_co_u32 v26, s2, s10, v23
	v_add_co_ci_u32_e64 v27, null, s11, 0, s2
	s_clause 0x1
	global_load_dwordx2 v[226:227], v[26:27], off offset:16
	global_load_dwordx4 v[246:249], v[26:27], off
	s_waitcnt vmcnt(1) lgkmcnt(4)
	v_mul_f32_e32 v31, v36, v227
	s_waitcnt vmcnt(0)
	v_mul_f32_e32 v23, v57, v247
	v_mul_f32_e32 v27, v56, v247
	v_fmac_f32_e32 v31, v37, v226
	v_fma_f32 v26, v56, v246, -v23
	v_mul_f32_e32 v23, v29, v249
	v_fmac_f32_e32 v27, v57, v246
	v_fma_f32 v30, v28, v248, -v23
	v_mul_f32_e32 v28, v28, v249
	v_mul_f32_e32 v23, v37, v227
	v_fmac_f32_e32 v28, v29, v248
	v_fma_f32 v29, v36, v226, -v23
	v_mul_u32_u24_sdwa v23, v133, v22 dst_sel:DWORD dst_unused:UNUSED_PAD src0_sel:WORD_0 src1_sel:DWORD
	v_lshrrev_b32_e32 v23, 16, v23
	v_sub_nc_u16 v36, v133, v23
	v_lshrrev_b16 v36, 1, v36
	v_add_nc_u16 v23, v36, v23
	v_lshrrev_b16 v56, 2, v23
	v_mul_lo_u16 v23, v56, 7
	v_sub_nc_u16 v57, v133, v23
	v_mul_lo_u16 v23, v57, 24
	v_and_b32_e32 v23, 0xffff, v23
	v_add_co_u32 v36, s2, s10, v23
	v_add_co_ci_u32_e64 v37, null, s11, 0, s2
	s_clause 0x1
	global_load_dwordx2 v[66:67], v[36:37], off offset:16
	global_load_dwordx4 v[218:221], v[36:37], off
	s_waitcnt vmcnt(1)
	buffer_store_dword v66, off, s[20:23], 0 offset:352 ; 4-byte Folded Spill
	buffer_store_dword v67, off, s[20:23], 0 offset:356 ; 4-byte Folded Spill
	s_waitcnt vmcnt(0)
	v_mul_f32_e32 v23, v59, v219
	v_mul_f32_e32 v93, v58, v219
	s_waitcnt lgkmcnt(2)
	v_mul_f32_e32 v95, v44, v221
	v_fma_f32 v92, v58, v218, -v23
	v_mul_f32_e32 v23, v45, v221
	v_fmac_f32_e32 v93, v59, v218
	v_fmac_f32_e32 v95, v45, v220
	v_fma_f32 v94, v44, v220, -v23
	v_mul_f32_e32 v23, v39, v67
	v_mul_f32_e32 v97, v38, v67
	v_fma_f32 v96, v38, v66, -v23
	v_mul_u32_u24_sdwa v23, v131, v22 dst_sel:DWORD dst_unused:UNUSED_PAD src0_sel:WORD_0 src1_sel:DWORD
	v_fmac_f32_e32 v97, v39, v66
	v_mul_u32_u24_sdwa v22, v132, v22 dst_sel:DWORD dst_unused:UNUSED_PAD src0_sel:WORD_0 src1_sel:DWORD
	v_lshrrev_b32_e32 v23, 16, v23
	v_lshrrev_b32_e32 v22, 16, v22
	v_sub_nc_u16 v36, v131, v23
	v_lshrrev_b16 v36, 1, v36
	v_add_nc_u16 v23, v36, v23
	v_lshrrev_b16 v58, 2, v23
	v_mul_lo_u16 v23, v58, 7
	v_sub_nc_u16 v59, v131, v23
	v_mul_lo_u16 v23, v59, 24
	v_and_b32_e32 v23, 0xffff, v23
	v_add_co_u32 v36, s2, s10, v23
	v_add_co_ci_u32_e64 v37, null, s11, 0, s2
	s_clause 0x1
	global_load_dwordx2 v[204:205], v[36:37], off offset:16
	global_load_dwordx4 v[36:39], v[36:37], off
	s_waitcnt vmcnt(1) lgkmcnt(0)
	v_mul_f32_e32 v103, v40, v205
	s_waitcnt vmcnt(0)
	v_mul_f32_e32 v23, v53, v37
	v_mul_f32_e32 v99, v52, v37
	;; [unrolled: 1-line block ×3, first 2 shown]
	v_fmac_f32_e32 v103, v41, v204
	v_fma_f32 v98, v52, v36, -v23
	v_mul_f32_e32 v23, v47, v39
	v_fmac_f32_e32 v99, v53, v36
	v_fmac_f32_e32 v101, v47, v38
	v_fma_f32 v100, v46, v38, -v23
	v_mul_f32_e32 v23, v41, v205
	v_fma_f32 v102, v40, v204, -v23
	v_sub_nc_u16 v23, v132, v22
	v_lshrrev_b16 v23, 1, v23
	v_add_nc_u16 v22, v23, v22
	v_lshrrev_b16 v22, 2, v22
	v_mul_lo_u16 v23, v22, 7
	v_sub_nc_u16 v23, v132, v23
	v_mul_lo_u16 v40, v23, 24
	v_and_b32_e32 v40, 0xffff, v40
	v_add_co_u32 v40, s2, s10, v40
	v_add_co_ci_u32_e64 v41, null, s11, 0, s2
	s_clause 0x1
	global_load_dwordx2 v[52:53], v[40:41], off offset:16
	global_load_dwordx4 v[44:47], v[40:41], off
	s_waitcnt vmcnt(1)
	buffer_store_dword v52, off, s[20:23], 0 offset:332 ; 4-byte Folded Spill
	buffer_store_dword v53, off, s[20:23], 0 offset:336 ; 4-byte Folded Spill
	s_waitcnt vmcnt(0)
	v_mul_f32_e32 v40, v55, v45
	v_mul_f32_e32 v105, v54, v45
	;; [unrolled: 1-line block ×3, first 2 shown]
	s_waitcnt_vscnt null, 0x0
	s_barrier
	v_fma_f32 v104, v54, v44, -v40
	v_fmac_f32_e32 v105, v55, v44
	v_sub_f32_e32 v54, v32, v1
	v_sub_f32_e32 v55, v33, v0
	;; [unrolled: 1-line block ×5, first 2 shown]
	v_mul_f32_e32 v40, v49, v47
	v_fmac_f32_e32 v107, v49, v46
	v_fma_f32 v2, v34, 2.0, -v0
	v_add_f32_e32 v87, v1, v4
	v_sub_f32_e32 v86, v0, v6
	v_sub_f32_e32 v4, v24, v64
	v_fma_f32 v106, v48, v46, -v40
	v_sub_f32_e32 v82, v2, v5
	v_sub_f32_e32 v5, v25, v65
	v_fma_f32 v88, v0, 2.0, -v86
	v_sub_f32_e32 v0, v16, v50
	v_fma_f32 v3, v35, 2.0, -v1
	v_fma_f32 v7, v11, 2.0, -v6
	;; [unrolled: 1-line block ×4, first 2 shown]
	v_sub_f32_e32 v1, v17, v51
	v_fma_f32 v2, v16, 2.0, -v0
	v_fma_f32 v6, v24, 2.0, -v4
	v_sub_f32_e32 v64, v0, v5
	v_sub_f32_e32 v83, v3, v7
	v_fma_f32 v7, v25, 2.0, -v5
	v_add_f32_e32 v65, v1, v4
	v_sub_f32_e32 v4, v26, v29
	v_fma_f32 v90, v0, 2.0, -v64
	v_sub_f32_e32 v0, v18, v30
	v_sub_f32_e32 v5, v27, v31
	v_fma_f32 v85, v3, 2.0, -v83
	v_fma_f32 v3, v17, 2.0, -v1
	v_fma_f32 v91, v1, 2.0, -v65
	v_sub_f32_e32 v1, v19, v28
	v_sub_f32_e32 v48, v0, v5
	v_fma_f32 v66, v32, 2.0, -v54
	v_fma_f32 v67, v33, 2.0, -v55
	buffer_gl0_inv
	v_add_f32_e32 v49, v1, v4
	v_fma_f32 v50, v0, 2.0, -v48
	v_fma_f32 v51, v1, 2.0, -v49
	v_mul_f32_e32 v40, v43, v53
	v_mul_f32_e32 v109, v42, v53
	v_sub_f32_e32 v53, v3, v7
	v_fma_f32 v7, v27, 2.0, -v5
	v_sub_f32_e32 v5, v93, v97
	v_fma_f32 v108, v42, v52, -v40
	v_fmac_f32_e32 v109, v43, v52
	v_sub_f32_e32 v52, v2, v6
	v_fma_f32 v6, v26, 2.0, -v4
	v_sub_f32_e32 v4, v92, v96
	v_fma_f32 v25, v3, 2.0, -v53
	v_fma_f32 v3, v19, 2.0, -v1
	;; [unrolled: 1-line block ×4, first 2 shown]
	v_sub_f32_e32 v0, v12, v94
	v_sub_f32_e32 v1, v13, v95
	;; [unrolled: 1-line block ×3, first 2 shown]
	v_fma_f32 v7, v93, 2.0, -v5
	v_sub_f32_e32 v40, v2, v6
	v_fma_f32 v6, v92, 2.0, -v4
	v_sub_f32_e32 v32, v0, v5
	v_add_f32_e32 v33, v1, v4
	v_sub_f32_e32 v4, v98, v102
	v_fma_f32 v42, v2, 2.0, -v40
	v_fma_f32 v2, v12, 2.0, -v0
	;; [unrolled: 1-line block ×3, first 2 shown]
	v_sub_f32_e32 v0, v14, v100
	v_fma_f32 v43, v3, 2.0, -v41
	v_fma_f32 v3, v13, 2.0, -v1
	v_sub_f32_e32 v18, v2, v6
	v_fma_f32 v6, v98, 2.0, -v4
	v_fma_f32 v35, v1, 2.0, -v33
	v_sub_f32_e32 v1, v15, v101
	v_sub_f32_e32 v19, v3, v7
	v_fma_f32 v20, v2, 2.0, -v18
	v_fma_f32 v2, v14, 2.0, -v0
	v_sub_f32_e32 v5, v99, v103
	v_fma_f32 v21, v3, 2.0, -v19
	v_fma_f32 v3, v15, 2.0, -v1
	v_sub_f32_e32 v10, v2, v6
	v_sub_f32_e32 v6, v8, v106
	v_fma_f32 v7, v99, 2.0, -v5
	v_sub_f32_e32 v14, v0, v5
	v_add_f32_e32 v15, v1, v4
	v_fma_f32 v12, v2, 2.0, -v10
	v_fma_f32 v2, v8, 2.0, -v6
	v_mov_b32_e32 v8, 28
	v_sub_f32_e32 v11, v3, v7
	v_sub_f32_e32 v7, v9, v107
	;; [unrolled: 1-line block ×4, first 2 shown]
	v_mul_u32_u24_sdwa v8, v75, v8 dst_sel:DWORD dst_unused:UNUSED_PAD src0_sel:WORD_0 src1_sel:DWORD
	v_fma_f32 v13, v3, 2.0, -v11
	v_fma_f32 v16, v0, 2.0, -v14
	;; [unrolled: 1-line block ×4, first 2 shown]
	v_add_lshl_u32 v8, v8, v74, 3
	v_fma_f32 v0, v104, 2.0, -v5
	v_fma_f32 v1, v105, 2.0, -v4
	v_sub_f32_e32 v4, v6, v4
	v_add_f32_e32 v5, v7, v5
	buffer_store_dword v8, off, s[20:23], 0 offset:260 ; 4-byte Folded Spill
	ds_write2_b64 v8, v[66:67], v[80:81] offset1:7
	ds_write2_b64 v8, v[54:55], v[78:79] offset0:14 offset1:21
	v_mad_u16 v8, v76, 28, v77
	v_sub_f32_e32 v0, v2, v0
	v_sub_f32_e32 v1, v3, v1
	v_fma_f32 v6, v6, 2.0, -v4
	v_fma_f32 v7, v7, 2.0, -v5
	v_lshlrev_b32_sdwa v8, v130, v8 dst_sel:DWORD dst_unused:UNUSED_PAD src0_sel:DWORD src1_sel:WORD_0
	v_fma_f32 v2, v2, 2.0, -v0
	v_fma_f32 v3, v3, 2.0, -v1
	v_mov_b32_e32 v55, v163
	v_mov_b32_e32 v54, v162
	buffer_store_dword v8, off, s[20:23], 0 offset:256 ; 4-byte Folded Spill
	ds_write2_b64 v8, v[84:85], v[88:89] offset1:7
	ds_write2_b64 v8, v[82:83], v[86:87] offset0:14 offset1:21
	v_mad_u16 v8, v60, 28, v61
	v_lshlrev_b32_sdwa v8, v130, v8 dst_sel:DWORD dst_unused:UNUSED_PAD src0_sel:DWORD src1_sel:WORD_0
	buffer_store_dword v8, off, s[20:23], 0 offset:252 ; 4-byte Folded Spill
	ds_write2_b64 v8, v[24:25], v[90:91] offset1:7
	ds_write2_b64 v8, v[52:53], v[64:65] offset0:14 offset1:21
	v_mad_u16 v8, v62, 28, v63
	v_mov_b32_e32 v52, v160
	v_lshlrev_b32_sdwa v8, v130, v8 dst_sel:DWORD dst_unused:UNUSED_PAD src0_sel:DWORD src1_sel:WORD_0
	buffer_store_dword v8, off, s[20:23], 0 offset:248 ; 4-byte Folded Spill
	ds_write2_b64 v8, v[42:43], v[50:51] offset1:7
	ds_write2_b64 v8, v[40:41], v[48:49] offset0:14 offset1:21
	v_mad_u16 v8, v56, 28, v57
	v_mov_b32_e32 v42, v164
	v_mov_b32_e32 v50, v159
	;; [unrolled: 1-line block ×4, first 2 shown]
	v_lshlrev_b32_sdwa v8, v130, v8 dst_sel:DWORD dst_unused:UNUSED_PAD src0_sel:DWORD src1_sel:WORD_0
	v_mov_b32_e32 v43, v156
	v_mov_b32_e32 v41, v185
	buffer_store_dword v8, off, s[20:23], 0 offset:244 ; 4-byte Folded Spill
	ds_write2_b64 v8, v[20:21], v[34:35] offset1:7
	ds_write2_b64 v8, v[18:19], v[32:33] offset0:14 offset1:21
	v_mad_u16 v8, v58, 28, v59
	v_lshlrev_b32_sdwa v8, v130, v8 dst_sel:DWORD dst_unused:UNUSED_PAD src0_sel:DWORD src1_sel:WORD_0
	buffer_store_dword v8, off, s[20:23], 0 offset:240 ; 4-byte Folded Spill
	ds_write2_b64 v8, v[12:13], v[16:17] offset1:7
	ds_write2_b64 v8, v[10:11], v[14:15] offset0:14 offset1:21
	v_mad_u16 v8, v22, 28, v23
	v_lshlrev_b32_sdwa v8, v130, v8 dst_sel:DWORD dst_unused:UNUSED_PAD src0_sel:DWORD src1_sel:WORD_0
	buffer_store_dword v8, off, s[20:23], 0 offset:236 ; 4-byte Folded Spill
	ds_write2_b64 v8, v[2:3], v[6:7] offset1:7
	ds_write2_b64 v8, v[0:1], v[4:5] offset0:14 offset1:21
	v_lshrrev_b16 v0, 2, v73
	s_waitcnt lgkmcnt(0)
	s_waitcnt_vscnt null, 0x0
	s_barrier
	buffer_gl0_inv
	ds_read2_b64 v[80:83], v69 offset1:196
	ds_read2_b64 v[8:11], v191 offset0:16 offset1:212
	ds_read2_b64 v[12:15], v146 offset0:32 offset1:228
	;; [unrolled: 1-line block ×3, first 2 shown]
	ds_read2_b64 v[22:25], v190 offset1:196
	ds_read2_b64 v[26:29], v143 offset0:16 offset1:212
	ds_read2_b64 v[30:33], v147 offset0:32 offset1:228
	;; [unrolled: 1-line block ×9, first 2 shown]
	v_mul_lo_u16 v0, v0, 37
	v_lshrrev_b16 v111, 8, v0
	v_mul_lo_u16 v0, v111, 28
	v_sub_nc_u16 v0, v72, v0
	v_and_b32_e32 v110, 0xff, v0
	v_mad_u64_u32 v[0:1], null, v110, 48, s[10:11]
	s_clause 0x2
	global_load_dwordx4 v[222:225], v[0:1], off offset:200
	global_load_dwordx4 v[200:203], v[0:1], off offset:184
	;; [unrolled: 1-line block ×3, first 2 shown]
	s_waitcnt vmcnt(2) lgkmcnt(7)
	v_mul_f32_e32 v122, v30, v225
	s_waitcnt vmcnt(1)
	v_mul_f32_e32 v2, v23, v203
	s_waitcnt vmcnt(0)
	v_mul_f32_e32 v0, v9, v235
	v_mul_f32_e32 v7, v8, v235
	v_mul_f32_e32 v5, v12, v237
	v_mul_f32_e32 v3, v22, v203
	v_fma_f32 v2, v22, v202, -v2
	v_fma_f32 v6, v8, v234, -v0
	v_mul_f32_e32 v0, v13, v237
	v_mul_f32_e32 v8, v27, v223
	v_fmac_f32_e32 v7, v9, v234
	v_mul_f32_e32 v9, v26, v223
	v_fmac_f32_e32 v5, v13, v236
	v_fma_f32 v4, v12, v236, -v0
	v_mul_f32_e32 v12, v31, v225
	v_fma_f32 v8, v26, v222, -v8
	v_mov_b32_e32 v26, 0x4925
	v_fmac_f32_e32 v3, v23, v202
	v_mul_f32_e32 v0, v17, v201
	v_fma_f32 v121, v30, v224, -v12
	v_lshrrev_b16 v12, 2, v71
	v_mul_f32_e32 v1, v16, v201
	v_fmac_f32_e32 v9, v27, v222
	v_fma_f32 v0, v16, v200, -v0
	v_fmac_f32_e32 v122, v31, v224
	v_mul_u32_u24_sdwa v12, v12, v26 dst_sel:DWORD dst_unused:UNUSED_PAD src0_sel:WORD_0 src1_sel:DWORD
	v_fmac_f32_e32 v1, v17, v200
	v_add_f32_e32 v27, v5, v9
	v_sub_f32_e32 v5, v5, v9
	v_lshrrev_b32_e32 v112, 17, v12
	v_add_f32_e32 v9, v1, v3
	v_sub_f32_e32 v1, v3, v1
	v_mul_lo_u16 v12, v112, 28
	v_add_f32_e32 v31, v1, v5
	v_sub_nc_u16 v71, v71, v12
	v_mul_lo_u16 v12, v71, 48
	v_and_b32_e32 v12, 0xffff, v12
	v_add_co_u32 v12, s2, s10, v12
	v_add_co_ci_u32_e64 v13, null, s11, 0, s2
	s_clause 0x2
	global_load_dwordx4 v[196:199], v[12:13], off offset:200
	global_load_dwordx4 v[192:195], v[12:13], off offset:184
	global_load_dwordx4 v[186:189], v[12:13], off offset:168
	s_waitcnt vmcnt(2)
	v_mul_f32_e32 v126, v28, v197
	s_waitcnt vmcnt(1)
	v_mul_f32_e32 v124, v24, v195
	;; [unrolled: 2-line block ×3, first 2 shown]
	v_mul_f32_e32 v23, v10, v187
	v_mul_f32_e32 v118, v14, v189
	;; [unrolled: 1-line block ×3, first 2 shown]
	v_fmac_f32_e32 v124, v25, v194
	v_fma_f32 v22, v10, v186, -v12
	v_mul_f32_e32 v10, v15, v189
	v_fmac_f32_e32 v23, v11, v186
	v_fmac_f32_e32 v118, v15, v188
	;; [unrolled: 1-line block ×4, first 2 shown]
	v_fma_f32 v117, v14, v188, -v10
	v_mul_f32_e32 v10, v19, v193
	v_mul_f32_e32 v120, v18, v193
	v_fma_f32 v119, v18, v192, -v10
	v_mul_f32_e32 v10, v25, v195
	v_fmac_f32_e32 v120, v19, v192
	v_fma_f32 v123, v24, v194, -v10
	v_mul_f32_e32 v10, v29, v197
	v_mul_u32_u24_sdwa v24, v135, v26 dst_sel:DWORD dst_unused:UNUSED_PAD src0_sel:WORD_0 src1_sel:DWORD
	v_fma_f32 v125, v28, v196, -v10
	v_mul_f32_e32 v10, v33, v199
	v_lshrrev_b32_e32 v115, 17, v24
	v_sub_f32_e32 v33, v1, v5
	v_fma_f32 v127, v32, v198, -v10
	v_mul_u32_u24_sdwa v10, v134, v26 dst_sel:DWORD dst_unused:UNUSED_PAD src0_sel:WORD_0 src1_sel:DWORD
	v_mul_lo_u16 v24, v115, 28
	v_add_f32_e32 v26, v4, v8
	v_sub_f32_e32 v4, v4, v8
	v_add_f32_e32 v8, v0, v2
	v_lshrrev_b32_e32 v113, 17, v10
	v_sub_nc_u16 v116, v129, v24
	v_sub_f32_e32 v0, v2, v0
	v_mul_lo_u16 v10, v113, 28
	v_mul_lo_u16 v24, v116, 48
	v_add_f32_e32 v30, v0, v4
	v_sub_f32_e32 v32, v0, v4
	v_sub_nc_u16 v114, v128, v10
	v_and_b32_e32 v24, 0xffff, v24
	v_mul_lo_u16 v10, v114, 48
	v_and_b32_e32 v10, 0xffff, v10
	v_add_co_u32 v10, s2, s10, v10
	v_add_co_ci_u32_e64 v11, null, s11, 0, s2
	v_add_co_u32 v24, s2, s10, v24
	s_clause 0x2
	global_load_dwordx4 v[180:183], v[10:11], off offset:200
	global_load_dwordx4 v[56:59], v[10:11], off offset:184
	;; [unrolled: 1-line block ×3, first 2 shown]
	v_add_co_ci_u32_e64 v25, null, s11, 0, s2
	s_clause 0x2
	global_load_dwordx4 v[64:67], v[24:25], off offset:200
	global_load_dwordx4 v[212:215], v[24:25], off offset:184
	;; [unrolled: 1-line block ×3, first 2 shown]
	v_add_f32_e32 v25, v7, v122
	v_sub_f32_e32 v7, v7, v122
	s_waitcnt vmcnt(0) lgkmcnt(0)
	s_barrier
	buffer_gl0_inv
	v_add_f32_e32 v3, v27, v25
	v_sub_f32_e32 v29, v27, v25
	v_sub_f32_e32 v25, v25, v9
	;; [unrolled: 1-line block ×4, first 2 shown]
	v_add_f32_e32 v3, v9, v3
	v_sub_f32_e32 v5, v5, v7
	v_add_f32_e32 v7, v31, v7
	v_mul_f32_e32 v9, 0x3f4a47b2, v25
	v_mul_f32_e32 v25, 0x3d64c772, v27
	;; [unrolled: 1-line block ×4, first 2 shown]
	v_fmamk_f32 v27, v27, 0x3d64c772, v9
	v_fma_f32 v25, 0x3f3bfb3b, v29, -v25
	v_fma_f32 v9, 0xbf3bfb3b, v29, -v9
	v_fmamk_f32 v29, v1, 0x3eae86e6, v31
	v_fma_f32 v5, 0x3f5ff5aa, v5, -v31
	v_fmac_f32_e32 v33, 0xbeae86e6, v1
	v_fmac_f32_e32 v29, 0x3ee1c552, v7
	;; [unrolled: 1-line block ×4, first 2 shown]
	v_sub_f32_e32 v7, v118, v126
	v_mul_f32_e32 v20, v85, v183
	v_mul_f32_e32 v12, v93, v59
	;; [unrolled: 1-line block ×6, first 2 shown]
	v_fma_f32 v12, v92, v58, -v12
	v_fma_f32 v16, v104, v60, -v10
	v_mul_f32_e32 v10, v101, v63
	v_mul_f32_e32 v24, v107, v73
	v_fmac_f32_e32 v15, v101, v62
	v_mul_f32_e32 v101, v106, v73
	v_fmac_f32_e32 v13, v93, v58
	v_fma_f32 v14, v100, v62, -v10
	v_fma_f32 v100, v106, v72, -v24
	v_mul_f32_e32 v24, v103, v75
	v_add_f32_e32 v93, v81, v3
	v_fmac_f32_e32 v17, v105, v60
	v_mul_f32_e32 v21, v84, v183
	v_fmac_f32_e32 v101, v107, v72
	v_fma_f32 v104, v102, v74, -v24
	v_mul_f32_e32 v102, v102, v75
	v_mul_f32_e32 v24, v99, v213
	v_fmamk_f32 v3, v3, 0xbf955555, v93
	v_mul_f32_e32 v105, v94, v215
	v_mul_f32_e32 v107, v90, v65
	v_fmac_f32_e32 v102, v103, v74
	v_fma_f32 v103, v98, v212, -v24
	v_mul_f32_e32 v98, v98, v213
	v_mul_f32_e32 v24, v95, v215
	v_add_f32_e32 v1, v27, v3
	v_add_f32_e32 v25, v25, v3
	v_mul_f32_e32 v18, v89, v181
	v_fmac_f32_e32 v98, v99, v212
	v_fma_f32 v99, v94, v214, -v24
	v_mul_f32_e32 v24, v91, v65
	v_mul_f32_e32 v19, v88, v181
	v_fma_f32 v20, v84, v182, -v20
	v_fmac_f32_e32 v21, v85, v182
	v_fmac_f32_e32 v105, v95, v214
	v_fma_f32 v106, v90, v64, -v24
	v_mul_f32_e32 v24, v87, v67
	v_fmac_f32_e32 v107, v91, v64
	v_mul_f32_e32 v109, v86, v67
	v_add_f32_e32 v3, v9, v3
	v_fma_f32 v18, v88, v180, -v18
	v_fma_f32 v108, v86, v66, -v24
	v_add_f32_e32 v24, v6, v121
	v_sub_f32_e32 v6, v6, v121
	v_fmac_f32_e32 v19, v89, v180
	v_fmac_f32_e32 v109, v87, v66
	v_add_f32_e32 v9, v120, v124
	v_add_f32_e32 v2, v26, v24
	v_sub_f32_e32 v28, v26, v24
	v_sub_f32_e32 v24, v24, v8
	;; [unrolled: 1-line block ×4, first 2 shown]
	v_add_f32_e32 v2, v8, v2
	v_sub_f32_e32 v4, v4, v6
	v_add_f32_e32 v6, v30, v6
	v_mul_f32_e32 v8, 0x3f4a47b2, v24
	v_mul_f32_e32 v24, 0x3d64c772, v26
	v_add_f32_e32 v92, v80, v2
	v_mul_f32_e32 v30, 0xbf08b237, v32
	v_mul_f32_e32 v32, 0xbf5ff5aa, v4
	v_fmamk_f32 v26, v26, 0x3d64c772, v8
	v_fma_f32 v24, 0x3f3bfb3b, v28, -v24
	v_fmamk_f32 v2, v2, 0xbf955555, v92
	v_fma_f32 v8, 0xbf3bfb3b, v28, -v8
	;; [unrolled: 2-line block ×3, first 2 shown]
	v_fmac_f32_e32 v32, 0xbeae86e6, v0
	v_add_f32_e32 v0, v26, v2
	v_add_f32_e32 v24, v24, v2
	v_fmac_f32_e32 v28, 0x3ee1c552, v6
	v_fmac_f32_e32 v4, 0x3ee1c552, v6
	v_add_f32_e32 v2, v8, v2
	v_fmac_f32_e32 v32, 0x3ee1c552, v6
	v_add_f32_e32 v94, v29, v0
	v_sub_f32_e32 v95, v1, v28
	v_sub_f32_e32 v90, v24, v5
	v_add_f32_e32 v91, v4, v25
	v_add_f32_e32 v84, v5, v24
	v_sub_f32_e32 v85, v25, v4
	v_sub_f32_e32 v80, v0, v29
	v_add_f32_e32 v81, v28, v1
	v_add_f32_e32 v0, v22, v127
	;; [unrolled: 1-line block ×6, first 2 shown]
	v_sub_f32_e32 v89, v3, v32
	v_sub_f32_e32 v86, v2, v33
	v_add_f32_e32 v87, v32, v3
	v_sub_f32_e32 v2, v22, v127
	v_sub_f32_e32 v3, v23, v136
	;; [unrolled: 1-line block ×3, first 2 shown]
	v_add_f32_e32 v8, v119, v123
	v_sub_f32_e32 v22, v123, v119
	v_sub_f32_e32 v23, v124, v120
	v_add_f32_e32 v24, v4, v0
	v_add_f32_e32 v25, v5, v1
	v_mul_f32_e32 v10, v97, v57
	v_mul_f32_e32 v11, v96, v57
	v_sub_f32_e32 v26, v4, v0
	v_sub_f32_e32 v27, v5, v1
	;; [unrolled: 1-line block ×6, first 2 shown]
	v_add_f32_e32 v28, v22, v6
	v_add_f32_e32 v29, v23, v7
	v_sub_f32_e32 v30, v22, v6
	v_sub_f32_e32 v31, v23, v7
	;; [unrolled: 1-line block ×4, first 2 shown]
	v_add_f32_e32 v8, v8, v24
	v_add_f32_e32 v9, v9, v25
	v_fma_f32 v10, v96, v56, -v10
	v_fmac_f32_e32 v11, v97, v56
	v_sub_f32_e32 v22, v2, v22
	v_sub_f32_e32 v23, v3, v23
	v_add_f32_e32 v2, v28, v2
	v_add_f32_e32 v3, v29, v3
	;; [unrolled: 1-line block ×4, first 2 shown]
	v_mul_f32_e32 v0, 0x3f4a47b2, v0
	v_mul_f32_e32 v1, 0x3f4a47b2, v1
	;; [unrolled: 1-line block ×8, first 2 shown]
	v_fmamk_f32 v8, v8, 0xbf955555, v96
	v_fmamk_f32 v9, v9, 0xbf955555, v97
	;; [unrolled: 1-line block ×4, first 2 shown]
	v_fma_f32 v24, 0x3f3bfb3b, v26, -v24
	v_fma_f32 v25, 0x3f3bfb3b, v27, -v25
	;; [unrolled: 1-line block ×4, first 2 shown]
	v_fmamk_f32 v26, v22, 0x3eae86e6, v28
	v_fmamk_f32 v27, v23, 0x3eae86e6, v29
	v_fma_f32 v28, 0x3f5ff5aa, v6, -v28
	v_fma_f32 v29, 0x3f5ff5aa, v7, -v29
	v_fmac_f32_e32 v30, 0xbeae86e6, v22
	v_fmac_f32_e32 v31, 0xbeae86e6, v23
	v_add_f32_e32 v22, v4, v8
	v_add_f32_e32 v23, v5, v9
	;; [unrolled: 1-line block ×6, first 2 shown]
	v_fmac_f32_e32 v26, 0x3ee1c552, v2
	v_fmac_f32_e32 v27, 0x3ee1c552, v3
	;; [unrolled: 1-line block ×6, first 2 shown]
	v_add_f32_e32 v8, v27, v22
	v_sub_f32_e32 v9, v23, v26
	v_sub_f32_e32 v82, v4, v29
	;; [unrolled: 1-line block ×3, first 2 shown]
	v_add_f32_e32 v6, v31, v0
	v_add_f32_e32 v83, v28, v5
	v_add_f32_e32 v2, v29, v4
	v_sub_f32_e32 v3, v5, v28
	v_sub_f32_e32 v4, v0, v31
	v_add_f32_e32 v5, v30, v1
	v_sub_f32_e32 v0, v22, v27
	v_add_f32_e32 v1, v26, v23
	v_add_f32_e32 v22, v16, v20
	;; [unrolled: 1-line block ×3, first 2 shown]
	v_sub_f32_e32 v16, v16, v20
	v_sub_f32_e32 v17, v17, v21
	v_add_f32_e32 v20, v14, v18
	v_add_f32_e32 v21, v15, v19
	v_sub_f32_e32 v14, v14, v18
	v_sub_f32_e32 v15, v15, v19
	v_add_f32_e32 v18, v10, v12
	v_add_f32_e32 v19, v11, v13
	;; [unrolled: 4-line block ×3, first 2 shown]
	v_sub_f32_e32 v24, v20, v22
	v_sub_f32_e32 v25, v21, v23
	;; [unrolled: 1-line block ×6, first 2 shown]
	v_add_f32_e32 v20, v10, v14
	v_add_f32_e32 v21, v11, v15
	v_sub_f32_e32 v28, v10, v14
	v_sub_f32_e32 v29, v11, v15
	;; [unrolled: 1-line block ×3, first 2 shown]
	v_add_f32_e32 v12, v18, v12
	v_add_f32_e32 v13, v19, v13
	v_sub_f32_e32 v10, v16, v10
	v_sub_f32_e32 v11, v17, v11
	v_sub_f32_e32 v14, v14, v16
	v_add_f32_e32 v16, v20, v16
	v_add_f32_e32 v17, v21, v17
	;; [unrolled: 1-line block ×4, first 2 shown]
	v_mul_f32_e32 v18, 0x3f4a47b2, v22
	v_mul_f32_e32 v19, 0x3f4a47b2, v23
	;; [unrolled: 1-line block ×8, first 2 shown]
	v_fmamk_f32 v12, v12, 0xbf955555, v20
	v_fmamk_f32 v13, v13, 0xbf955555, v21
	v_fmamk_f32 v26, v26, 0x3d64c772, v18
	v_fma_f32 v22, 0x3f3bfb3b, v24, -v22
	v_fma_f32 v23, 0x3f3bfb3b, v25, -v23
	;; [unrolled: 1-line block ×5, first 2 shown]
	v_fmac_f32_e32 v31, 0xbeae86e6, v11
	v_fmamk_f32 v27, v27, 0x3d64c772, v19
	v_fma_f32 v19, 0xbf3bfb3b, v25, -v19
	v_fmamk_f32 v24, v10, 0x3eae86e6, v28
	v_fmamk_f32 v25, v11, 0x3eae86e6, v29
	v_fmac_f32_e32 v30, 0xbeae86e6, v10
	v_add_f32_e32 v10, v26, v12
	v_add_f32_e32 v22, v22, v12
	;; [unrolled: 1-line block ×4, first 2 shown]
	v_fmac_f32_e32 v14, 0x3ee1c552, v16
	v_fmac_f32_e32 v15, 0x3ee1c552, v17
	;; [unrolled: 1-line block ×3, first 2 shown]
	v_add_f32_e32 v11, v27, v13
	v_add_f32_e32 v27, v19, v13
	v_fmac_f32_e32 v24, 0x3ee1c552, v16
	v_fmac_f32_e32 v25, 0x3ee1c552, v17
	;; [unrolled: 1-line block ×3, first 2 shown]
	v_add_f32_e32 v16, v31, v26
	v_sub_f32_e32 v18, v22, v15
	v_add_f32_e32 v19, v14, v23
	v_add_f32_e32 v12, v15, v22
	v_sub_f32_e32 v13, v23, v14
	v_sub_f32_e32 v14, v26, v31
	v_add_f32_e32 v22, v100, v108
	v_add_f32_e32 v26, v104, v106
	;; [unrolled: 1-line block ×3, first 2 shown]
	v_sub_f32_e32 v17, v27, v30
	v_add_f32_e32 v15, v30, v27
	v_sub_f32_e32 v10, v10, v25
	v_sub_f32_e32 v25, v101, v109
	;; [unrolled: 1-line block ×4, first 2 shown]
	v_add_f32_e32 v30, v103, v99
	v_sub_f32_e32 v32, v99, v103
	v_sub_f32_e32 v33, v105, v98
	v_add_f32_e32 v34, v26, v22
	v_sub_f32_e32 v77, v11, v24
	v_add_f32_e32 v11, v24, v11
	v_add_f32_e32 v23, v101, v109
	v_sub_f32_e32 v24, v100, v108
	v_add_f32_e32 v31, v98, v105
	v_sub_f32_e32 v98, v26, v22
	v_sub_f32_e32 v22, v22, v30
	v_sub_f32_e32 v26, v30, v26
	v_add_f32_e32 v100, v32, v28
	v_add_f32_e32 v101, v33, v29
	v_sub_f32_e32 v103, v33, v29
	v_sub_f32_e32 v29, v29, v25
	v_add_f32_e32 v30, v30, v34
	v_add_f32_e32 v27, v102, v107
	v_sub_f32_e32 v102, v32, v28
	v_sub_f32_e32 v32, v24, v32
	v_sub_f32_e32 v33, v25, v33
	v_sub_f32_e32 v28, v28, v24
	v_add_f32_e32 v24, v100, v24
	v_add_f32_e32 v106, v78, v30
	v_mul_f32_e32 v22, 0x3f4a47b2, v22
	v_mul_f32_e32 v100, 0xbf5ff5aa, v29
	v_add_f32_e32 v25, v101, v25
	v_mul_f32_e32 v34, 0x3d64c772, v26
	v_fmamk_f32 v30, v30, 0xbf955555, v106
	v_fmamk_f32 v26, v26, 0x3d64c772, v22
	v_fma_f32 v22, 0xbf3bfb3b, v98, -v22
	v_fmac_f32_e32 v100, 0xbeae86e6, v33
	v_mul_f32_e32 v78, 0xbf08b237, v102
	v_add_f32_e32 v35, v27, v23
	v_sub_f32_e32 v99, v27, v23
	v_add_f32_e32 v22, v22, v30
	v_fmac_f32_e32 v100, 0x3ee1c552, v25
	v_sub_f32_e32 v23, v23, v31
	v_sub_f32_e32 v27, v31, v27
	v_add_f32_e32 v31, v31, v35
	v_mul_f32_e32 v101, 0xbf5ff5aa, v28
	v_add_f32_e32 v102, v100, v22
	v_sub_f32_e32 v100, v22, v100
	v_mov_b32_e32 v22, 0xc4
	v_add_f32_e32 v107, v79, v31
	v_mul_f32_e32 v23, 0x3f4a47b2, v23
	v_mul_f32_e32 v35, 0x3d64c772, v27
	;; [unrolled: 1-line block ×3, first 2 shown]
	v_mul_u32_u24_sdwa v22, v111, v22 dst_sel:DWORD dst_unused:UNUSED_PAD src0_sel:WORD_0 src1_sel:DWORD
	v_fmamk_f32 v31, v31, 0xbf955555, v107
	v_fmamk_f32 v27, v27, 0x3d64c772, v23
	v_fma_f32 v34, 0x3f3bfb3b, v98, -v34
	v_fma_f32 v35, 0x3f3bfb3b, v99, -v35
	v_add_lshl_u32 v22, v22, v110, 3
	v_fma_f32 v23, 0xbf3bfb3b, v99, -v23
	v_fmamk_f32 v117, v32, 0x3eae86e6, v78
	v_fmamk_f32 v118, v33, 0x3eae86e6, v79
	v_fma_f32 v28, 0x3f5ff5aa, v28, -v78
	buffer_store_dword v22, off, s[20:23], 0 offset:312 ; 4-byte Folded Spill
	ds_write2_b64 v22, v[92:93], v[94:95] offset1:28
	ds_write2_b64 v22, v[88:89], v[90:91] offset0:56 offset1:84
	ds_write2_b64 v22, v[84:85], v[86:87] offset0:112 offset1:140
	ds_write_b64 v22, v[80:81] offset:1344
	v_mad_u16 v22, 0xc4, v112, v71
	v_fma_f32 v29, 0x3f5ff5aa, v29, -v79
	v_fmac_f32_e32 v101, 0xbeae86e6, v32
	v_add_f32_e32 v26, v26, v30
	v_add_f32_e32 v27, v27, v31
	v_lshlrev_b32_sdwa v22, v130, v22 dst_sel:DWORD dst_unused:UNUSED_PAD src0_sel:DWORD src1_sel:WORD_0
	v_add_f32_e32 v32, v34, v30
	v_add_f32_e32 v33, v35, v31
	;; [unrolled: 1-line block ×3, first 2 shown]
	v_fmac_f32_e32 v117, 0x3ee1c552, v24
	ds_write2_b64 v22, v[96:97], v[8:9] offset1:28
	buffer_store_dword v22, off, s[20:23], 0 offset:328 ; 4-byte Folded Spill
	ds_write2_b64 v22, v[6:7], v[82:83] offset0:56 offset1:84
	ds_write2_b64 v22, v[2:3], v[4:5] offset0:112 offset1:140
	ds_write_b64 v22, v[0:1] offset:1344
	v_mad_u16 v0, 0xc4, v113, v114
	v_fmac_f32_e32 v118, 0x3ee1c552, v25
	v_fmac_f32_e32 v28, 0x3ee1c552, v24
	;; [unrolled: 1-line block ×4, first 2 shown]
	v_lshlrev_b32_sdwa v0, v130, v0 dst_sel:DWORD dst_unused:UNUSED_PAD src0_sel:DWORD src1_sel:WORD_0
	v_add_f32_e32 v108, v118, v26
	v_sub_f32_e32 v109, v27, v117
	v_sub_f32_e32 v104, v32, v29
	;; [unrolled: 1-line block ×3, first 2 shown]
	ds_write2_b64 v0, v[20:21], v[76:77] offset1:28
	buffer_store_dword v0, off, s[20:23], 0 offset:340 ; 4-byte Folded Spill
	ds_write2_b64 v0, v[16:17], v[18:19] offset0:56 offset1:84
	ds_write2_b64 v0, v[12:13], v[14:15] offset0:112 offset1:140
	ds_write_b64 v0, v[10:11] offset:1344
	v_mad_u16 v0, 0xc4, v115, v116
	v_add_f32_e32 v105, v28, v33
	v_add_f32_e32 v98, v29, v32
	v_sub_f32_e32 v99, v33, v28
	v_add_f32_e32 v101, v101, v23
	v_lshlrev_b32_sdwa v0, v130, v0 dst_sel:DWORD dst_unused:UNUSED_PAD src0_sel:DWORD src1_sel:WORD_0
	v_sub_f32_e32 v78, v26, v118
	v_add_f32_e32 v79, v117, v27
	v_mov_b32_e32 v32, 0xa73
	v_mov_b32_e32 v71, v42
	ds_write2_b64 v0, v[106:107], v[108:109] offset1:28
	buffer_store_dword v0, off, s[20:23], 0 offset:316 ; 4-byte Folded Spill
	ds_write2_b64 v0, v[102:103], v[104:105] offset0:56 offset1:84
	ds_write2_b64 v0, v[98:99], v[100:101] offset0:112 offset1:140
	ds_write_b64 v0, v[78:79] offset:1344
	v_mad_u64_u32 v[0:1], null, v184, 24, s[10:11]
	s_waitcnt lgkmcnt(0)
	s_waitcnt_vscnt null, 0x0
	s_barrier
	buffer_gl0_inv
	ds_read2_b64 v[112:115], v69 offset1:196
	ds_read2_b64 v[88:91], v153 offset0:24 offset1:220
	ds_read2_b64 v[4:7], v141 offset0:56 offset1:252
	;; [unrolled: 1-line block ×6, first 2 shown]
	ds_read2_b64 v[20:23], v190 offset1:196
	ds_read2_b64 v[24:27], v142 offset0:40 offset1:236
	ds_read2_b64 v[28:31], v147 offset0:32 offset1:228
	;; [unrolled: 1-line block ×3, first 2 shown]
	buffer_store_dword v184, off, s[20:23], 0 offset:216 ; 4-byte Folded Spill
	ds_read2_b64 v[98:101], v140 offset0:8 offset1:204
	ds_read2_b64 v[124:127], v145 offset0:48 offset1:244
	;; [unrolled: 1-line block ×3, first 2 shown]
	s_clause 0x1
	global_load_dwordx2 v[252:253], v[0:1], off offset:1528
	global_load_dwordx4 v[76:79], v[0:1], off offset:1512
	s_waitcnt vmcnt(1) lgkmcnt(10)
	v_mul_f32_e32 v9, v122, v253
	s_waitcnt vmcnt(0)
	v_mul_f32_e32 v0, v91, v77
	s_waitcnt lgkmcnt(9)
	v_mul_f32_e32 v1, v12, v77
	v_mul_f32_e32 v11, v4, v79
	;; [unrolled: 1-line block ×3, first 2 shown]
	v_fmac_f32_e32 v9, v123, v252
	v_fma_f32 v2, v90, v76, -v0
	v_mul_f32_e32 v0, v5, v79
	v_fmac_f32_e32 v1, v13, v76
	v_fmac_f32_e32 v11, v5, v78
	v_mul_f32_e32 v5, v6, v79
	v_fmac_f32_e32 v3, v91, v76
	v_fma_f32 v10, v4, v78, -v0
	v_mul_f32_e32 v0, v123, v253
	v_mul_f32_e32 v4, v7, v79
	v_fmac_f32_e32 v5, v7, v78
	s_waitcnt lgkmcnt(8)
	v_mul_f32_e32 v7, v16, v253
	v_sub_f32_e32 v10, v112, v10
	v_fma_f32 v8, v122, v252, -v0
	v_mul_f32_e32 v0, v13, v77
	v_fma_f32 v4, v6, v78, -v4
	v_mul_f32_e32 v6, v17, v253
	v_fmac_f32_e32 v7, v17, v252
	v_sub_f32_e32 v11, v113, v11
	v_fma_f32 v0, v12, v76, -v0
	v_mul_u32_u24_sdwa v12, v134, v32 dst_sel:DWORD dst_unused:UNUSED_PAD src0_sel:WORD_0 src1_sel:DWORD
	v_fma_f32 v6, v16, v252, -v6
	v_sub_f32_e32 v8, v2, v8
	v_sub_f32_e32 v9, v3, v9
	;; [unrolled: 1-line block ×3, first 2 shown]
	v_lshrrev_b32_e32 v12, 17, v12
	v_sub_f32_e32 v6, v0, v6
	v_fma_f32 v2, v2, 2.0, -v8
	v_fma_f32 v3, v3, 2.0, -v9
	;; [unrolled: 1-line block ×3, first 2 shown]
	v_mul_lo_u16 v12, 0xc4, v12
	v_fma_f32 v0, v0, 2.0, -v6
	v_sub_nc_u16 v122, v128, v12
	v_mul_lo_u16 v12, v122, 24
	v_and_b32_e32 v12, 0xffff, v12
	v_add_co_u32 v12, s2, s10, v12
	v_add_co_ci_u32_e64 v13, null, s11, 0, s2
	s_clause 0x1
	global_load_dwordx2 v[210:211], v[12:13], off offset:1528
	global_load_dwordx4 v[80:83], v[12:13], off offset:1512
	s_waitcnt vmcnt(1)
	v_mul_f32_e32 v16, v19, v211
	s_waitcnt vmcnt(0)
	v_mul_f32_e32 v12, v15, v81
	v_mul_f32_e32 v13, v14, v81
	v_fma_f32 v12, v14, v80, -v12
	s_waitcnt lgkmcnt(6)
	v_mul_f32_e32 v14, v21, v83
	v_fmac_f32_e32 v13, v15, v80
	v_mul_f32_e32 v15, v20, v83
	v_fma_f32 v14, v20, v82, -v14
	v_fma_f32 v20, v18, v210, -v16
	v_mul_u32_u24_sdwa v16, v135, v32 dst_sel:DWORD dst_unused:UNUSED_PAD src0_sel:WORD_0 src1_sel:DWORD
	v_mul_f32_e32 v18, v18, v211
	v_fmac_f32_e32 v15, v21, v82
	v_lshrrev_b32_e32 v16, 17, v16
	v_fmac_f32_e32 v18, v19, v210
	v_mul_lo_u16 v16, 0xc4, v16
	v_sub_nc_u16 v123, v129, v16
	v_mul_lo_u16 v16, v123, 24
	v_and_b32_e32 v16, 0xffff, v16
	v_add_co_u32 v16, s2, s10, v16
	v_add_co_ci_u32_e64 v17, null, s11, 0, s2
	s_clause 0x1
	global_load_dwordx2 v[254:255], v[16:17], off offset:1528
	global_load_dwordx4 v[92:95], v[16:17], off offset:1512
	s_waitcnt vmcnt(1) lgkmcnt(4)
	v_mul_f32_e32 v134, v28, v255
	s_waitcnt vmcnt(0)
	v_mul_f32_e32 v16, v25, v93
	v_mul_f32_e32 v91, v22, v95
	;; [unrolled: 1-line block ×3, first 2 shown]
	v_fmac_f32_e32 v134, v29, v254
	v_fma_f32 v19, v24, v92, -v16
	v_mul_f32_e32 v16, v23, v95
	v_fmac_f32_e32 v91, v23, v94
	v_fmac_f32_e32 v21, v25, v92
	v_fma_f32 v90, v22, v94, -v16
	v_mul_f32_e32 v16, v29, v255
	v_add_f32_e32 v29, v11, v8
	v_fma_f32 v129, v28, v254, -v16
	v_lshrrev_b16 v16, 2, v133
	v_sub_f32_e32 v28, v10, v9
	v_mul_u32_u24_sdwa v16, v16, v32 dst_sel:DWORD dst_unused:UNUSED_PAD src0_sel:WORD_0 src1_sel:DWORD
	v_lshrrev_b32_e32 v16, 17, v16
	v_mul_lo_u16 v16, 0xc4, v16
	v_sub_nc_u16 v128, v133, v16
	v_mul_lo_u16 v16, v128, 24
	v_and_b32_e32 v16, 0xffff, v16
	v_add_co_u32 v16, s2, s10, v16
	v_add_co_ci_u32_e64 v17, null, s11, 0, s2
	s_clause 0x1
	global_load_dwordx2 v[216:217], v[16:17], off offset:1528
	global_load_dwordx4 v[84:87], v[16:17], off offset:1512
	s_waitcnt vmcnt(1)
	v_mul_f32_e32 v139, v30, v217
	s_waitcnt vmcnt(0)
	v_mul_f32_e32 v16, v27, v85
	s_waitcnt lgkmcnt(2)
	v_mul_f32_e32 v137, v98, v87
	v_mul_f32_e32 v135, v26, v85
	v_fmac_f32_e32 v139, v31, v216
	v_fma_f32 v133, v26, v84, -v16
	v_mul_f32_e32 v16, v99, v87
	v_fmac_f32_e32 v137, v99, v86
	v_fmac_f32_e32 v135, v27, v84
	v_fma_f32 v136, v98, v86, -v16
	v_mul_f32_e32 v16, v31, v217
	v_fma_f32 v31, v11, 2.0, -v29
	v_fma_f32 v138, v30, v216, -v16
	v_lshrrev_b16 v16, 2, v131
	v_fma_f32 v30, v10, 2.0, -v28
	v_mul_u32_u24_sdwa v16, v16, v32 dst_sel:DWORD dst_unused:UNUSED_PAD src0_sel:WORD_0 src1_sel:DWORD
	v_lshrrev_b32_e32 v16, 17, v16
	v_mul_lo_u16 v16, 0xc4, v16
	v_sub_nc_u16 v22, v131, v16
	v_mul_lo_u16 v16, v22, 24
	v_and_b32_e32 v16, 0xffff, v16
	v_add_co_u32 v16, s2, s10, v16
	v_add_co_ci_u32_e64 v17, null, s11, 0, s2
	s_clause 0x1
	global_load_dwordx2 v[250:251], v[16:17], off offset:1528
	global_load_dwordx4 v[96:99], v[16:17], off offset:1512
	s_waitcnt vmcnt(1) lgkmcnt(0)
	v_mul_f32_e32 v145, v116, v251
	s_waitcnt vmcnt(0)
	v_mul_f32_e32 v16, v125, v97
	v_mul_f32_e32 v143, v100, v99
	;; [unrolled: 1-line block ×3, first 2 shown]
	v_fmac_f32_e32 v145, v117, v250
	v_fma_f32 v140, v124, v96, -v16
	v_mul_f32_e32 v16, v101, v99
	v_fmac_f32_e32 v143, v101, v98
	v_fmac_f32_e32 v141, v125, v96
	v_fma_f32 v142, v100, v98, -v16
	v_mul_f32_e32 v16, v117, v251
	v_fma_f32 v144, v116, v250, -v16
	v_lshrrev_b16 v16, 2, v132
	v_mul_u32_u24_sdwa v16, v16, v32 dst_sel:DWORD dst_unused:UNUSED_PAD src0_sel:WORD_0 src1_sel:DWORD
	v_lshrrev_b32_e32 v16, 17, v16
	v_mul_lo_u16 v16, 0xc4, v16
	v_sub_nc_u16 v23, v132, v16
	v_mul_lo_u16 v16, v23, 24
	v_and_b32_e32 v16, 0xffff, v16
	v_add_co_u32 v16, s2, s10, v16
	v_add_co_ci_u32_e64 v17, null, s11, 0, s2
	s_clause 0x1
	global_load_dwordx2 v[228:229], v[16:17], off offset:1528
	global_load_dwordx4 v[100:103], v[16:17], off offset:1512
	v_fma_f32 v17, v113, 2.0, -v11
	s_waitcnt vmcnt(0)
	s_waitcnt_vscnt null, 0x0
	s_barrier
	buffer_gl0_inv
	s_mov_b32 s2, 0x515a4f1d
	v_sub_f32_e32 v25, v17, v3
	v_sub_f32_e32 v3, v115, v5
	s_mov_b32 s3, 0x3f27e225
	v_fma_f32 v27, v17, 2.0, -v25
	v_fma_f32 v5, v115, 2.0, -v3
	v_add_f32_e32 v117, v3, v6
	v_sub_f32_e32 v33, v5, v1
	v_sub_f32_e32 v1, v109, v15
	v_fma_f32 v35, v5, 2.0, -v33
	v_sub_f32_e32 v5, v13, v18
	v_mul_f32_e32 v151, v118, v229
	v_mul_f32_e32 v16, v127, v101
	;; [unrolled: 1-line block ×4, first 2 shown]
	v_fmac_f32_e32 v151, v119, v228
	v_fma_f32 v146, v126, v100, -v16
	v_mul_f32_e32 v16, v121, v103
	v_fmac_f32_e32 v147, v127, v100
	v_fmac_f32_e32 v149, v121, v102
	v_fma_f32 v148, v120, v102, -v16
	v_mul_f32_e32 v16, v119, v229
	v_fma_f32 v119, v3, 2.0, -v117
	v_fma_f32 v3, v109, 2.0, -v1
	v_fma_f32 v150, v118, v228, -v16
	v_fma_f32 v16, v112, 2.0, -v10
	v_sub_f32_e32 v24, v16, v2
	v_sub_f32_e32 v2, v114, v4
	v_fma_f32 v26, v16, 2.0, -v24
	v_fma_f32 v4, v114, 2.0, -v2
	v_sub_f32_e32 v116, v2, v7
	v_fma_f32 v7, v13, 2.0, -v5
	ds_write2_b64 v69, v[26:27], v[30:31] offset1:196
	v_sub_f32_e32 v32, v4, v0
	v_sub_f32_e32 v0, v108, v14
	v_fma_f32 v118, v2, 2.0, -v116
	v_sub_f32_e32 v121, v3, v7
	v_mov_b32_e32 v30, v154
	v_fma_f32 v34, v4, 2.0, -v32
	v_sub_f32_e32 v4, v12, v20
	v_fma_f32 v2, v108, 2.0, -v0
	v_sub_f32_e32 v126, v0, v5
	v_sub_f32_e32 v5, v21, v134
	ds_write2_b64 v154, v[24:25], v[28:29] offset0:8 offset1:204
	ds_write2_b64 v191, v[34:35], v[118:119] offset0:16 offset1:212
	v_fma_f32 v6, v12, 2.0, -v4
	v_add_f32_e32 v127, v1, v4
	v_fma_f32 v131, v0, 2.0, -v126
	v_sub_f32_e32 v0, v110, v90
	v_sub_f32_e32 v4, v19, v129
	;; [unrolled: 1-line block ×3, first 2 shown]
	v_fma_f32 v132, v1, 2.0, -v127
	v_sub_f32_e32 v1, v111, v91
	v_lshlrev_b32_sdwa v24, v130, v122 dst_sel:DWORD dst_unused:UNUSED_PAD src0_sel:DWORD src1_sel:WORD_0
	v_fma_f32 v125, v3, 2.0, -v121
	v_fma_f32 v124, v2, 2.0, -v120
	;; [unrolled: 1-line block ×6, first 2 shown]
	v_sub_f32_e32 v110, v0, v5
	v_add_f32_e32 v111, v1, v4
	v_add_nc_u32_e32 v27, 0x3000, v24
	v_add_nc_u32_e32 v24, 0x3c00, v24
	v_sub_f32_e32 v108, v2, v6
	v_sub_f32_e32 v109, v3, v7
	v_fma_f32 v114, v0, 2.0, -v110
	v_fma_f32 v115, v1, 2.0, -v111
	v_sub_f32_e32 v0, v104, v136
	v_sub_f32_e32 v1, v105, v137
	;; [unrolled: 1-line block ×4, first 2 shown]
	ds_write2_b64 v153, v[32:33], v[116:117] offset0:24 offset1:220
	buffer_store_dword v24, off, s[20:23], 0 offset:268 ; 4-byte Folded Spill
	ds_write2_b64 v24, v[120:121], v[126:127] offset0:40 offset1:236
	v_lshlrev_b32_sdwa v24, v130, v123 dst_sel:DWORD dst_unused:UNUSED_PAD src0_sel:DWORD src1_sel:WORD_0
	v_fma_f32 v112, v2, 2.0, -v108
	v_fma_f32 v113, v3, 2.0, -v109
	v_fma_f32 v2, v104, 2.0, -v0
	v_fma_f32 v3, v105, 2.0, -v1
	v_fma_f32 v6, v133, 2.0, -v4
	v_fma_f32 v7, v135, 2.0, -v5
	v_sub_f32_e32 v18, v0, v5
	v_add_f32_e32 v19, v1, v4
	buffer_store_dword v27, off, s[20:23], 0 offset:264 ; 4-byte Folded Spill
	ds_write2_b64 v27, v[124:125], v[131:132] offset0:32 offset1:228
	v_add_nc_u32_e32 v27, 0x4800, v24
	v_add_nc_u32_e32 v24, 0x5400, v24
	v_sub_f32_e32 v16, v2, v6
	v_sub_f32_e32 v17, v3, v7
	v_fma_f32 v90, v0, 2.0, -v18
	v_fma_f32 v91, v1, 2.0, -v19
	v_sub_f32_e32 v0, v106, v142
	v_sub_f32_e32 v1, v107, v143
	;; [unrolled: 1-line block ×4, first 2 shown]
	buffer_store_dword v24, off, s[20:23], 0 offset:276 ; 4-byte Folded Spill
	ds_write2_b64 v24, v[108:109], v[110:111] offset0:56 offset1:252
	v_lshlrev_b32_sdwa v24, v130, v128 dst_sel:DWORD dst_unused:UNUSED_PAD src0_sel:DWORD src1_sel:WORD_0
	v_fma_f32 v20, v2, 2.0, -v16
	v_fma_f32 v21, v3, 2.0, -v17
	;; [unrolled: 1-line block ×6, first 2 shown]
	buffer_store_dword v27, off, s[20:23], 0 offset:272 ; 4-byte Folded Spill
	ds_write2_b64 v27, v[112:113], v[114:115] offset0:48 offset1:244
	v_add_nc_u32_e32 v27, 0x6200, v24
	v_sub_f32_e32 v8, v2, v6
	v_sub_f32_e32 v9, v3, v7
	;; [unrolled: 1-line block ×4, first 2 shown]
	ds_write2_b64 v27, v[20:21], v[90:91] offset1:196
	v_add_nc_u32_e32 v20, 0x6e00, v24
	v_fma_f32 v12, v2, 2.0, -v8
	v_fma_f32 v13, v3, 2.0, -v9
	v_sub_f32_e32 v10, v0, v5
	v_add_f32_e32 v11, v1, v4
	v_fma_f32 v2, v88, 2.0, -v6
	v_fma_f32 v3, v89, 2.0, -v7
	v_sub_f32_e32 v88, v146, v150
	v_sub_f32_e32 v89, v147, v151
	ds_write2_b64 v20, v[16:17], v[18:19] offset0:8 offset1:204
	v_lshlrev_b32_sdwa v16, v130, v22 dst_sel:DWORD dst_unused:UNUSED_PAD src0_sel:DWORD src1_sel:WORD_0
	v_fma_f32 v14, v0, 2.0, -v10
	v_fma_f32 v15, v1, 2.0, -v11
	;; [unrolled: 1-line block ×4, first 2 shown]
	v_add_nc_u32_e32 v17, 0x7a00, v16
	v_mad_u64_u32 v[144:145], null, v184, 48, s[10:11]
	v_sub_f32_e32 v0, v2, v0
	v_sub_f32_e32 v1, v3, v1
	ds_write2_b64 v17, v[12:13], v[14:15] offset0:16 offset1:212
	v_add_nc_u32_e32 v12, 0x8600, v16
	v_mov_b32_e32 v26, v153
	v_fma_f32 v4, v2, 2.0, -v0
	v_fma_f32 v5, v3, 2.0, -v1
	v_sub_f32_e32 v2, v6, v89
	v_add_f32_e32 v3, v7, v88
	ds_write2_b64 v12, v[8:9], v[10:11] offset0:24 offset1:220
	v_lshlrev_b32_sdwa v8, v130, v23 dst_sel:DWORD dst_unused:UNUSED_PAD src0_sel:DWORD src1_sel:WORD_0
	buffer_store_dword v27, off, s[20:23], 0 offset:280 ; 4-byte Folded Spill
	v_fma_f32 v6, v6, 2.0, -v2
	v_fma_f32 v7, v7, 2.0, -v3
	buffer_store_dword v20, off, s[20:23], 0 offset:292 ; 4-byte Folded Spill
	v_add_nc_u32_e32 v9, 0x9200, v8
	buffer_store_dword v17, off, s[20:23], 0 offset:288 ; 4-byte Folded Spill
	buffer_store_dword v12, off, s[20:23], 0 offset:284 ; 4-byte Folded Spill
	v_mov_b32_e32 v51, v26
	v_mov_b32_e32 v40, v30
	ds_write2_b64 v9, v[4:5], v[6:7] offset0:32 offset1:228
	v_add_nc_u32_e32 v4, 0x9e00, v8
	buffer_store_dword v9, off, s[20:23], 0 offset:300 ; 4-byte Folded Spill
	ds_write2_b64 v4, v[0:1], v[2:3] offset0:40 offset1:236
	v_add_co_u32 v0, vcc_lo, 0x1848, v144
	v_add_co_ci_u32_e32 v1, vcc_lo, 0, v145, vcc_lo
	v_add_co_u32 v2, vcc_lo, 0x1800, v144
	v_add_co_ci_u32_e32 v3, vcc_lo, 0, v145, vcc_lo
	buffer_store_dword v4, off, s[20:23], 0 offset:296 ; 4-byte Folded Spill
	s_waitcnt lgkmcnt(0)
	s_waitcnt_vscnt null, 0x0
	s_barrier
	buffer_gl0_inv
	ds_read2_b64 v[152:155], v69 offset1:196
	ds_read2_b64 v[5:8], v191 offset0:16 offset1:212
	ds_read2_b64 v[13:16], v163 offset0:32 offset1:228
	;; [unrolled: 1-line block ×3, first 2 shown]
	ds_read2_b64 v[122:125], v190 offset1:196
	ds_read2_b64 v[126:129], v160 offset0:16 offset1:212
	ds_read2_b64 v[130:133], v164 offset0:32 offset1:228
	ds_read2_b64 v[148:151], v30 offset0:8 offset1:204
	ds_read2_b64 v[176:179], v26 offset0:24 offset1:220
	ds_read2_b64 v[172:175], v159 offset0:40 offset1:236
	ds_read2_b64 v[168:171], v158 offset0:56 offset1:252
	ds_read2_b64 v[164:167], v157 offset0:8 offset1:204
	ds_read2_b64 v[160:163], v156 offset0:24 offset1:220
	ds_read2_b64 v[156:159], v185 offset0:40 offset1:236
	s_clause 0x2
	global_load_dwordx4 v[116:119], v[2:3], off offset:72
	global_load_dwordx4 v[104:107], v[0:1], off offset:32
	;; [unrolled: 1-line block ×3, first 2 shown]
	v_add_co_u32 v9, vcc_lo, 0x3d08, v144
	v_add_co_ci_u32_e32 v10, vcc_lo, 0, v145, vcc_lo
	v_add_co_u32 v11, vcc_lo, 0x3800, v144
	v_add_co_ci_u32_e32 v12, vcc_lo, 0, v145, vcc_lo
	s_waitcnt vmcnt(2) lgkmcnt(12)
	v_mul_f32_e32 v0, v6, v117
	v_mul_f32_e32 v31, v5, v117
	s_waitcnt vmcnt(0) lgkmcnt(9)
	v_mul_f32_e32 v27, v122, v115
	s_waitcnt lgkmcnt(7)
	v_mul_f32_e32 v1, v131, v107
	v_mul_f32_e32 v29, v13, v119
	v_fma_f32 v2, v5, v116, -v0
	v_mul_f32_e32 v0, v14, v119
	v_fmac_f32_e32 v31, v6, v116
	v_fmac_f32_e32 v27, v123, v114
	v_fma_f32 v34, v130, v106, -v1
	v_fmac_f32_e32 v29, v14, v118
	v_fma_f32 v4, v13, v118, -v0
	v_mul_f32_e32 v0, v20, v113
	v_mul_f32_e32 v25, v19, v113
	;; [unrolled: 1-line block ×4, first 2 shown]
	v_fma_f32 v24, v19, v112, -v0
	v_mul_f32_e32 v0, v123, v115
	v_fmac_f32_e32 v25, v20, v112
	v_fmac_f32_e32 v33, v127, v104
	;; [unrolled: 1-line block ×3, first 2 shown]
	v_fma_f32 v6, v122, v114, -v0
	s_clause 0x2
	global_load_dwordx4 v[108:111], v[11:12], off offset:1288
	global_load_dwordx4 v[88:91], v[9:10], off offset:32
	;; [unrolled: 1-line block ×3, first 2 shown]
	v_mul_f32_e32 v0, v127, v105
	v_fma_f32 v0, v126, v104, -v0
	s_waitcnt vmcnt(2)
	v_mul_f32_e32 v1, v8, v109
	v_mul_f32_e32 v9, v15, v111
	;; [unrolled: 1-line block ×3, first 2 shown]
	s_waitcnt vmcnt(0)
	v_mul_f32_e32 v23, v124, v123
	v_mul_f32_e32 v5, v128, v89
	v_fma_f32 v14, v7, v108, -v1
	v_mul_f32_e32 v1, v16, v111
	v_fmac_f32_e32 v9, v16, v110
	v_mul_f32_e32 v7, v132, v91
	v_fmac_f32_e32 v3, v8, v108
	v_fmac_f32_e32 v23, v125, v122
	v_fma_f32 v12, v15, v110, -v1
	v_mul_f32_e32 v1, v22, v121
	v_add_co_u32 v15, vcc_lo, 0x61c8, v144
	v_add_co_ci_u32_e32 v16, vcc_lo, 0, v145, vcc_lo
	v_fma_f32 v20, v21, v120, -v1
	v_mul_f32_e32 v21, v21, v121
	v_mul_f32_e32 v1, v125, v123
	v_add_co_u32 v17, vcc_lo, 0x6000, v144
	v_add_co_ci_u32_e32 v18, vcc_lo, 0, v145, vcc_lo
	v_fmac_f32_e32 v21, v22, v120
	v_fma_f32 v22, v124, v122, -v1
	v_mul_f32_e32 v1, v129, v89
	v_fmac_f32_e32 v7, v133, v90
	v_add_co_u32 v146, vcc_lo, 0x8688, v144
	v_add_co_ci_u32_e32 v147, vcc_lo, 0, v145, vcc_lo
	v_fma_f32 v10, v128, v88, -v1
	v_mul_f32_e32 v1, v133, v91
	v_add_co_u32 v124, vcc_lo, 0x8000, v144
	v_add_co_ci_u32_e32 v125, vcc_lo, 0, v145, vcc_lo
	v_fma_f32 v8, v132, v90, -v1
	s_clause 0x2
	global_load_dwordx4 v[140:143], v[17:18], off offset:456
	global_load_dwordx4 v[132:135], v[15:16], off offset:32
	;; [unrolled: 1-line block ×3, first 2 shown]
	v_fmac_f32_e32 v5, v129, v88
	s_clause 0x2
	global_load_dwordx4 v[128:131], v[124:125], off offset:1672
	global_load_dwordx4 v[124:127], v[146:147], off offset:32
	;; [unrolled: 1-line block ×3, first 2 shown]
	s_waitcnt vmcnt(5) lgkmcnt(5)
	v_mul_f32_e32 v1, v177, v141
	s_waitcnt lgkmcnt(4)
	v_mul_f32_e32 v15, v172, v143
	s_waitcnt vmcnt(3) lgkmcnt(3)
	v_mul_f32_e32 v11, v168, v137
	v_mul_f32_e32 v17, v176, v141
	s_waitcnt lgkmcnt(1)
	v_mul_f32_e32 v19, v160, v133
	v_fma_f32 v16, v176, v140, -v1
	v_mul_f32_e32 v1, v173, v143
	v_fmac_f32_e32 v11, v169, v136
	s_waitcnt vmcnt(1)
	v_mul_f32_e32 v185, v162, v125
	v_fmac_f32_e32 v19, v161, v132
	v_fmac_f32_e32 v17, v177, v140
	v_fma_f32 v26, v172, v142, -v1
	v_mul_f32_e32 v1, v169, v137
	s_waitcnt lgkmcnt(0)
	v_mul_f32_e32 v169, v156, v135
	v_fmac_f32_e32 v185, v163, v124
	v_fmac_f32_e32 v15, v173, v142
	v_mul_f32_e32 v173, v178, v129
	v_fma_f32 v30, v168, v136, -v1
	v_mul_f32_e32 v1, v165, v139
	v_fmac_f32_e32 v169, v157, v134
	s_waitcnt vmcnt(0)
	v_mul_f32_e32 v177, v166, v147
	v_fmac_f32_e32 v173, v179, v128
	v_mul_f32_e32 v13, v164, v139
	v_fma_f32 v28, v164, v138, -v1
	v_mul_f32_e32 v1, v161, v133
	v_fmac_f32_e32 v177, v167, v146
	v_fmac_f32_e32 v13, v165, v138
	v_fma_f32 v18, v160, v132, -v1
	v_mul_f32_e32 v1, v157, v135
	v_add_f32_e32 v157, v31, v35
	v_sub_f32_e32 v31, v31, v35
	v_add_f32_e32 v35, v29, v33
	v_fma_f32 v168, v156, v134, -v1
	v_mul_f32_e32 v1, v179, v129
	v_add_f32_e32 v156, v2, v34
	v_sub_f32_e32 v2, v2, v34
	v_add_f32_e32 v34, v4, v0
	v_sub_f32_e32 v0, v4, v0
	v_fma_f32 v172, v178, v128, -v1
	v_mul_f32_e32 v1, v175, v131
	v_sub_f32_e32 v4, v29, v33
	v_add_f32_e32 v29, v24, v6
	v_add_f32_e32 v33, v25, v27
	v_sub_f32_e32 v6, v6, v24
	v_fma_f32 v176, v174, v130, -v1
	v_mul_f32_e32 v174, v174, v131
	v_mul_f32_e32 v1, v171, v145
	v_sub_f32_e32 v24, v27, v25
	v_add_f32_e32 v25, v34, v156
	v_add_f32_e32 v27, v35, v157
	v_fmac_f32_e32 v174, v175, v130
	v_fma_f32 v175, v170, v144, -v1
	v_mul_f32_e32 v170, v170, v145
	v_mul_f32_e32 v1, v167, v147
	v_sub_f32_e32 v160, v156, v29
	v_sub_f32_e32 v161, v157, v33
	v_add_f32_e32 v25, v29, v25
	v_fmac_f32_e32 v170, v171, v144
	v_fma_f32 v171, v166, v146, -v1
	v_mul_f32_e32 v1, v163, v125
	v_sub_f32_e32 v163, v24, v4
	v_add_f32_e32 v27, v33, v27
	v_fma_f32 v184, v162, v124, -v1
	v_mul_f32_e32 v1, v159, v127
	v_sub_f32_e32 v162, v6, v0
	v_fma_f32 v32, v158, v126, -v1
	v_mul_f32_e32 v1, v158, v127
	v_sub_f32_e32 v158, v34, v156
	v_sub_f32_e32 v34, v29, v34
	v_add_f32_e32 v156, v6, v0
	v_sub_f32_e32 v6, v2, v6
	v_fmac_f32_e32 v1, v159, v126
	v_sub_f32_e32 v159, v35, v157
	v_sub_f32_e32 v35, v33, v35
	v_add_f32_e32 v157, v24, v4
	v_sub_f32_e32 v24, v31, v24
	v_sub_f32_e32 v0, v0, v2
	v_sub_f32_e32 v4, v4, v31
	v_add_f32_e32 v2, v156, v2
	v_add_f32_e32 v29, v157, v31
	;; [unrolled: 1-line block ×4, first 2 shown]
	v_mul_f32_e32 v31, 0x3f4a47b2, v160
	v_mul_f32_e32 v33, 0x3f4a47b2, v161
	;; [unrolled: 1-line block ×8, first 2 shown]
	v_fmamk_f32 v25, v25, 0xbf955555, v156
	v_fmamk_f32 v27, v27, 0xbf955555, v157
	;; [unrolled: 1-line block ×4, first 2 shown]
	v_fma_f32 v152, 0x3f3bfb3b, v158, -v152
	v_fma_f32 v153, 0x3f3bfb3b, v159, -v153
	v_fmamk_f32 v179, v24, 0x3eae86e6, v161
	v_fma_f32 v0, 0x3f5ff5aa, v0, -v160
	v_fma_f32 v4, 0x3f5ff5aa, v4, -v161
	v_fmamk_f32 v178, v6, 0x3eae86e6, v160
	v_fmac_f32_e32 v166, 0xbeae86e6, v6
	v_fmac_f32_e32 v167, 0xbeae86e6, v24
	v_add_f32_e32 v6, v34, v25
	v_add_f32_e32 v34, v35, v27
	;; [unrolled: 1-line block ×4, first 2 shown]
	v_fmac_f32_e32 v179, 0x3ee1c552, v29
	v_fmac_f32_e32 v0, 0x3ee1c552, v2
	;; [unrolled: 1-line block ×3, first 2 shown]
	v_fma_f32 v31, 0xbf3bfb3b, v158, -v31
	v_fma_f32 v33, 0xbf3bfb3b, v159, -v33
	v_fmac_f32_e32 v178, 0x3ee1c552, v2
	v_fmac_f32_e32 v166, 0x3ee1c552, v2
	v_add_f32_e32 v164, v179, v6
	v_sub_f32_e32 v160, v24, v4
	v_add_f32_e32 v161, v0, v35
	v_add_f32_e32 v158, v4, v24
	v_sub_f32_e32 v159, v35, v0
	v_sub_f32_e32 v24, v6, v179
	v_add_f32_e32 v0, v14, v8
	v_add_f32_e32 v2, v3, v7
	v_sub_f32_e32 v3, v3, v7
	v_add_f32_e32 v6, v12, v10
	v_add_f32_e32 v7, v9, v5
	;; [unrolled: 1-line block ×3, first 2 shown]
	v_sub_f32_e32 v4, v14, v8
	v_sub_f32_e32 v8, v12, v10
	;; [unrolled: 1-line block ×3, first 2 shown]
	v_add_f32_e32 v9, v20, v22
	v_add_f32_e32 v10, v21, v23
	v_sub_f32_e32 v12, v22, v20
	v_sub_f32_e32 v14, v23, v21
	v_add_f32_e32 v20, v6, v0
	v_add_f32_e32 v21, v7, v2
	;; [unrolled: 1-line block ×3, first 2 shown]
	v_fmac_f32_e32 v167, 0x3ee1c552, v29
	v_sub_f32_e32 v163, v27, v166
	v_add_f32_e32 v153, v166, v27
	v_sub_f32_e32 v22, v6, v0
	v_sub_f32_e32 v23, v7, v2
	;; [unrolled: 1-line block ×6, first 2 shown]
	v_add_f32_e32 v27, v12, v8
	v_add_f32_e32 v29, v14, v5
	v_sub_f32_e32 v31, v12, v8
	v_sub_f32_e32 v33, v14, v5
	;; [unrolled: 1-line block ×3, first 2 shown]
	v_add_f32_e32 v9, v9, v20
	v_add_f32_e32 v10, v10, v21
	v_sub_f32_e32 v12, v4, v12
	v_sub_f32_e32 v14, v3, v14
	;; [unrolled: 1-line block ×3, first 2 shown]
	v_add_f32_e32 v4, v27, v4
	v_add_f32_e32 v3, v29, v3
	;; [unrolled: 1-line block ×4, first 2 shown]
	v_mul_f32_e32 v0, 0x3f4a47b2, v0
	v_mul_f32_e32 v2, 0x3f4a47b2, v2
	v_mul_f32_e32 v27, 0x3d64c772, v6
	v_mul_f32_e32 v29, 0x3d64c772, v7
	v_mul_f32_e32 v31, 0xbf08b237, v31
	v_mul_f32_e32 v33, 0xbf08b237, v33
	v_mul_f32_e32 v35, 0xbf5ff5aa, v5
	v_sub_f32_e32 v165, v34, v178
	v_add_f32_e32 v162, v167, v25
	v_sub_f32_e32 v152, v25, v167
	v_add_f32_e32 v25, v178, v34
	v_mul_f32_e32 v34, 0xbf5ff5aa, v8
	v_fmamk_f32 v9, v9, 0xbf955555, v20
	v_fmamk_f32 v10, v10, 0xbf955555, v21
	;; [unrolled: 1-line block ×4, first 2 shown]
	v_fma_f32 v27, 0x3f3bfb3b, v22, -v27
	v_fma_f32 v29, 0x3f3bfb3b, v23, -v29
	;; [unrolled: 1-line block ×4, first 2 shown]
	v_fmamk_f32 v23, v12, 0x3eae86e6, v31
	v_fmamk_f32 v22, v14, 0x3eae86e6, v33
	v_fma_f32 v31, 0x3f5ff5aa, v8, -v31
	v_fma_f32 v5, 0x3f5ff5aa, v5, -v33
	v_fmac_f32_e32 v35, 0xbeae86e6, v14
	v_fmac_f32_e32 v34, 0xbeae86e6, v12
	v_add_f32_e32 v6, v6, v9
	v_add_f32_e32 v12, v27, v9
	;; [unrolled: 1-line block ×4, first 2 shown]
	v_fmac_f32_e32 v22, 0x3ee1c552, v3
	v_fmac_f32_e32 v31, 0x3ee1c552, v4
	v_fmac_f32_e32 v5, 0x3ee1c552, v3
	v_fmac_f32_e32 v35, 0x3ee1c552, v3
	v_add_f32_e32 v7, v7, v10
	v_add_f32_e32 v10, v2, v10
	v_fmac_f32_e32 v23, 0x3ee1c552, v4
	v_fmac_f32_e32 v34, 0x3ee1c552, v4
	v_add_f32_e32 v8, v22, v6
	v_add_f32_e32 v166, v35, v0
	v_sub_f32_e32 v154, v12, v5
	v_add_f32_e32 v155, v31, v14
	v_add_f32_e32 v4, v5, v12
	v_sub_f32_e32 v5, v14, v31
	v_sub_f32_e32 v2, v0, v35
	;; [unrolled: 1-line block ×3, first 2 shown]
	v_add_f32_e32 v0, v16, v168
	v_add_f32_e32 v6, v17, v169
	;; [unrolled: 1-line block ×4, first 2 shown]
	v_sub_f32_e32 v9, v7, v23
	v_sub_f32_e32 v167, v10, v34
	v_add_f32_e32 v3, v34, v10
	v_add_f32_e32 v23, v23, v7
	v_sub_f32_e32 v7, v16, v168
	v_sub_f32_e32 v10, v17, v169
	;; [unrolled: 1-line block ×4, first 2 shown]
	v_add_f32_e32 v17, v30, v28
	v_add_f32_e32 v18, v11, v13
	v_sub_f32_e32 v19, v28, v30
	v_sub_f32_e32 v11, v13, v11
	v_add_f32_e32 v13, v12, v0
	v_add_f32_e32 v26, v14, v6
	v_sub_f32_e32 v27, v12, v0
	v_sub_f32_e32 v28, v14, v6
	;; [unrolled: 1-line block ×6, first 2 shown]
	v_add_f32_e32 v29, v19, v16
	v_add_f32_e32 v30, v11, v15
	v_sub_f32_e32 v31, v19, v16
	v_sub_f32_e32 v33, v11, v15
	;; [unrolled: 1-line block ×4, first 2 shown]
	v_add_f32_e32 v13, v17, v13
	v_add_f32_e32 v17, v18, v26
	v_sub_f32_e32 v19, v7, v19
	v_sub_f32_e32 v34, v10, v11
	v_add_f32_e32 v7, v29, v7
	v_add_f32_e32 v18, v30, v10
	;; [unrolled: 1-line block ×4, first 2 shown]
	v_mul_f32_e32 v0, 0x3f4a47b2, v0
	v_mul_f32_e32 v6, 0x3f4a47b2, v6
	;; [unrolled: 1-line block ×8, first 2 shown]
	v_fmamk_f32 v13, v13, 0xbf955555, v10
	v_fmamk_f32 v17, v17, 0xbf955555, v11
	;; [unrolled: 1-line block ×4, first 2 shown]
	v_fma_f32 v26, 0x3f3bfb3b, v27, -v26
	v_fma_f32 v29, 0x3f3bfb3b, v28, -v29
	v_fma_f32 v0, 0xbf3bfb3b, v27, -v0
	v_fma_f32 v6, 0xbf3bfb3b, v28, -v6
	v_fmamk_f32 v27, v19, 0x3eae86e6, v30
	v_fma_f32 v30, 0x3f5ff5aa, v16, -v30
	v_fma_f32 v15, 0x3f5ff5aa, v15, -v31
	v_fmac_f32_e32 v33, 0xbeae86e6, v19
	v_fmac_f32_e32 v35, 0xbeae86e6, v34
	v_fmamk_f32 v28, v34, 0x3eae86e6, v31
	v_add_f32_e32 v31, v14, v17
	v_add_f32_e32 v14, v26, v13
	;; [unrolled: 1-line block ×5, first 2 shown]
	v_fmac_f32_e32 v27, 0x3ee1c552, v7
	v_fmac_f32_e32 v30, 0x3ee1c552, v7
	;; [unrolled: 1-line block ×5, first 2 shown]
	v_add_f32_e32 v12, v12, v13
	v_fmac_f32_e32 v28, 0x3ee1c552, v18
	v_sub_f32_e32 v179, v31, v27
	v_sub_f32_e32 v169, v6, v33
	v_add_f32_e32 v168, v35, v0
	v_sub_f32_e32 v18, v14, v15
	v_add_f32_e32 v19, v30, v26
	v_add_f32_e32 v16, v15, v14
	v_sub_f32_e32 v17, v26, v30
	v_sub_f32_e32 v14, v0, v35
	v_add_f32_e32 v15, v33, v6
	v_add_f32_e32 v13, v27, v31
	;; [unrolled: 1-line block ×7, first 2 shown]
	v_sub_f32_e32 v12, v12, v28
	v_sub_f32_e32 v7, v172, v32
	;; [unrolled: 1-line block ×5, first 2 shown]
	v_add_f32_e32 v30, v175, v171
	v_add_f32_e32 v31, v170, v177
	v_sub_f32_e32 v32, v171, v175
	v_sub_f32_e32 v33, v177, v170
	v_add_f32_e32 v34, v26, v0
	v_add_f32_e32 v35, v27, v6
	v_sub_f32_e32 v148, v26, v0
	v_sub_f32_e32 v149, v27, v6
	;; [unrolled: 1-line block ×6, first 2 shown]
	v_add_f32_e32 v171, v33, v29
	v_sub_f32_e32 v172, v32, v28
	v_sub_f32_e32 v173, v33, v29
	;; [unrolled: 1-line block ×3, first 2 shown]
	v_add_f32_e32 v30, v30, v34
	v_add_f32_e32 v31, v31, v35
	;; [unrolled: 1-line block ×3, first 2 shown]
	v_sub_f32_e32 v28, v28, v7
	v_sub_f32_e32 v32, v7, v32
	v_sub_f32_e32 v33, v1, v33
	v_add_f32_e32 v1, v171, v1
	v_add_f32_e32 v184, v150, v30
	;; [unrolled: 1-line block ×3, first 2 shown]
	v_mul_f32_e32 v0, 0x3f4a47b2, v0
	v_mul_f32_e32 v6, 0x3f4a47b2, v6
	;; [unrolled: 1-line block ×7, first 2 shown]
	v_add_f32_e32 v7, v170, v7
	v_mul_f32_e32 v170, 0xbf5ff5aa, v28
	v_fmamk_f32 v30, v30, 0xbf955555, v184
	v_fmamk_f32 v31, v31, 0xbf955555, v185
	;; [unrolled: 1-line block ×4, first 2 shown]
	v_fma_f32 v34, 0x3f3bfb3b, v148, -v34
	v_fma_f32 v35, 0x3f3bfb3b, v149, -v35
	;; [unrolled: 1-line block ×4, first 2 shown]
	v_fmamk_f32 v149, v32, 0x3eae86e6, v150
	v_fmamk_f32 v148, v33, 0x3eae86e6, v151
	v_fmac_f32_e32 v171, 0xbeae86e6, v33
	v_fmac_f32_e32 v170, 0xbeae86e6, v32
	v_fma_f32 v28, 0x3f5ff5aa, v28, -v150
	v_fma_f32 v29, 0x3f5ff5aa, v29, -v151
	v_add_f32_e32 v26, v26, v30
	v_add_f32_e32 v27, v27, v31
	v_add_f32_e32 v32, v34, v30
	v_add_f32_e32 v30, v0, v30
	v_fmac_f32_e32 v149, 0x3ee1c552, v7
	v_fmac_f32_e32 v148, 0x3ee1c552, v1
	;; [unrolled: 1-line block ×3, first 2 shown]
	v_add_f32_e32 v6, v6, v31
	v_fmac_f32_e32 v170, 0x3ee1c552, v7
	v_add_f32_e32 v33, v35, v31
	v_fmac_f32_e32 v28, 0x3ee1c552, v7
	v_fmac_f32_e32 v29, 0x3ee1c552, v1
	ds_write_b64 v69, v[164:165] offset:6272
	ds_write_b64 v69, v[162:163] offset:12544
	;; [unrolled: 1-line block ×6, first 2 shown]
	ds_write2_b64 v69, v[156:157], v[20:21] offset1:196
	v_add_nc_u32_e32 v152, 0x1e00, v69
	v_add_nc_u32_e32 v153, 0x3600, v69
	v_add_nc_u32_e32 v160, 0x4e00, v69
	v_add_nc_u32_e32 v161, 0x6800, v69
	v_add_nc_u32_e32 v162, 0x8000, v69
	v_add_nc_u32_e32 v163, 0x9800, v69
	v_add_f32_e32 v176, v148, v26
	v_sub_f32_e32 v177, v27, v149
	v_add_f32_e32 v174, v171, v30
	v_sub_f32_e32 v150, v30, v171
	v_add_co_u32 v30, vcc_lo, 0xab80, v68
	v_sub_f32_e32 v175, v6, v170
	v_sub_f32_e32 v172, v32, v29
	v_add_f32_e32 v173, v28, v33
	v_add_f32_e32 v0, v29, v32
	v_add_co_ci_u32_e32 v31, vcc_lo, 0, v70, vcc_lo
	v_sub_f32_e32 v1, v33, v28
	v_add_f32_e32 v151, v170, v6
	v_sub_f32_e32 v148, v26, v148
	v_add_f32_e32 v149, v149, v27
	ds_write2_b64 v152, v[8:9], v[178:179] offset0:20 offset1:216
	ds_write2_b64 v153, v[166:167], v[168:169] offset0:36 offset1:232
	ds_write2_b64 v160, v[154:155], v[18:19] offset0:52 offset1:248
	ds_write2_b64 v161, v[4:5], v[16:17] offset0:4 offset1:200
	ds_write2_b64 v162, v[2:3], v[14:15] offset0:20 offset1:216
	ds_write2_b64 v163, v[22:23], v[12:13] offset0:36 offset1:232
	ds_write2_b64 v40, v[10:11], v[184:185] offset0:8 offset1:204
	ds_write_b64 v69, v[176:177] offset:10976
	ds_write_b64 v69, v[174:175] offset:17248
	;; [unrolled: 1-line block ×6, first 2 shown]
	v_add_co_u32 v0, vcc_lo, 0xa800, v68
	v_add_co_ci_u32_e32 v1, vcc_lo, 0, v70, vcc_lo
	s_waitcnt lgkmcnt(0)
	s_barrier
	buffer_gl0_inv
	global_load_dwordx2 v[0:1], v[0:1], off offset:896
	ds_read2_b64 v[2:5], v69 offset1:196
	v_mov_b32_e32 v168, v55
	v_mov_b32_e32 v173, v51
	;; [unrolled: 1-line block ×5, first 2 shown]
	s_waitcnt vmcnt(0) lgkmcnt(0)
	v_mul_f32_e32 v6, v3, v1
	v_mul_f32_e32 v7, v2, v1
	v_fma_f32 v6, v2, v0, -v6
	v_fmac_f32_e32 v7, v3, v0
	v_add_co_u32 v0, vcc_lo, 0xc000, v68
	v_add_co_ci_u32_e32 v1, vcc_lo, 0, v70, vcc_lo
	ds_write_b64 v69, v[6:7]
	ds_read2_b64 v[6:9], v191 offset0:16 offset1:212
	ds_read2_b64 v[10:13], v55 offset0:32 offset1:228
	global_load_dwordx2 v[0:1], v[0:1], off offset:1024
	ds_read2_b64 v[14:17], v54 offset0:48 offset1:244
	ds_read2_b64 v[18:21], v190 offset1:196
	ds_read2_b64 v[22:25], v52 offset0:16 offset1:212
	ds_read2_b64 v[26:29], v42 offset0:32 offset1:228
	v_mov_b32_e32 v42, v40
	v_mov_b32_e32 v55, v54
	s_waitcnt vmcnt(0) lgkmcnt(5)
	v_mul_f32_e32 v2, v7, v1
	v_mul_f32_e32 v33, v6, v1
	v_fma_f32 v32, v6, v0, -v2
	v_fmac_f32_e32 v33, v7, v0
	v_add_co_u32 v0, vcc_lo, 0xd800, v68
	v_add_co_ci_u32_e32 v1, vcc_lo, 0, v70, vcc_lo
	global_load_dwordx2 v[0:1], v[0:1], off offset:1152
	s_waitcnt vmcnt(0) lgkmcnt(4)
	v_mul_f32_e32 v2, v11, v1
	v_mul_f32_e32 v35, v10, v1
	v_fma_f32 v34, v10, v0, -v2
	v_fmac_f32_e32 v35, v11, v0
	v_add_co_u32 v0, vcc_lo, 0xf000, v68
	v_add_co_ci_u32_e32 v1, vcc_lo, 0, v70, vcc_lo
	global_load_dwordx2 v[0:1], v[0:1], off offset:1280
	;; [unrolled: 8-line block ×4, first 2 shown]
	s_waitcnt vmcnt(0) lgkmcnt(1)
	v_mul_f32_e32 v2, v23, v1
	v_mul_f32_e32 v159, v22, v1
	v_fma_f32 v158, v22, v0, -v2
	v_add_co_u32 v2, vcc_lo, 0x13800, v68
	v_add_co_ci_u32_e32 v3, vcc_lo, 0, v70, vcc_lo
	v_fmac_f32_e32 v159, v23, v0
	s_clause 0x1
	global_load_dwordx2 v[6:7], v[2:3], off offset:1664
	global_load_dwordx2 v[2:3], v[2:3], off offset:96
	s_waitcnt vmcnt(1) lgkmcnt(0)
	v_mul_f32_e32 v0, v27, v7
	v_mul_f32_e32 v1, v26, v7
	v_fma_f32 v0, v26, v6, -v0
	v_fmac_f32_e32 v1, v27, v6
	global_load_dwordx2 v[6:7], v[30:31], off offset:1568
	s_waitcnt vmcnt(0)
	v_mul_f32_e32 v10, v5, v7
	v_mul_f32_e32 v11, v4, v7
	v_fma_f32 v10, v4, v6, -v10
	v_add_co_u32 v4, vcc_lo, 0xc800, v68
	v_fmac_f32_e32 v11, v5, v6
	v_add_co_ci_u32_e32 v5, vcc_lo, 0, v70, vcc_lo
	global_load_dwordx2 v[4:5], v[4:5], off offset:544
	s_waitcnt vmcnt(0)
	v_mul_f32_e32 v6, v9, v5
	v_mul_f32_e32 v15, v8, v5
	v_fma_f32 v14, v8, v4, -v6
	v_fmac_f32_e32 v15, v9, v4
	v_add_co_u32 v4, vcc_lo, 0xe000, v68
	v_add_co_ci_u32_e32 v5, vcc_lo, 0, v70, vcc_lo
	global_load_dwordx2 v[4:5], v[4:5], off offset:672
	s_waitcnt vmcnt(0)
	v_mul_f32_e32 v6, v13, v5
	v_mul_f32_e32 v19, v12, v5
	v_fma_f32 v18, v12, v4, -v6
	v_fmac_f32_e32 v19, v13, v4
	v_add_co_u32 v4, vcc_lo, 0xf800, v68
	;; [unrolled: 8-line block ×5, first 2 shown]
	v_add_co_ci_u32_e32 v5, vcc_lo, 0, v70, vcc_lo
	v_add_co_u32 v8, vcc_lo, 0xb000, v68
	v_add_co_ci_u32_e32 v9, vcc_lo, 0, v70, vcc_lo
	s_clause 0x1
	global_load_dwordx2 v[4:5], v[4:5], off offset:1184
	global_load_dwordx2 v[8:9], v[8:9], off offset:1984
	s_waitcnt vmcnt(1)
	v_mul_f32_e32 v6, v29, v5
	v_mul_f32_e32 v25, v28, v5
	v_fma_f32 v24, v28, v4, -v6
	v_fmac_f32_e32 v25, v29, v4
	ds_read2_b64 v[4:7], v40 offset0:8 offset1:204
	v_mov_b32_e32 v40, v43
	s_waitcnt vmcnt(0) lgkmcnt(0)
	v_mul_f32_e32 v12, v5, v9
	v_mul_f32_e32 v13, v4, v9
	v_fma_f32 v12, v4, v8, -v12
	v_fmac_f32_e32 v13, v5, v8
	v_add_nc_u32_e32 v4, 0x600, v69
	ds_write2_b64 v4, v[10:11], v[12:13] offset0:4 offset1:200
	v_add_co_u32 v4, vcc_lo, 0xd000, v68
	v_add_co_ci_u32_e32 v5, vcc_lo, 0, v70, vcc_lo
	ds_read2_b64 v[8:11], v51 offset0:24 offset1:220
	v_mov_b32_e32 v51, v42
	s_clause 0x1
	global_load_dwordx2 v[12:13], v[4:5], off offset:64
	global_load_dwordx2 v[4:5], v[4:5], off offset:1632
	s_waitcnt vmcnt(1) lgkmcnt(0)
	v_mul_f32_e32 v16, v9, v13
	v_mul_f32_e32 v17, v8, v13
	v_fma_f32 v16, v8, v12, -v16
	v_add_co_u32 v8, vcc_lo, 0xe800, v68
	v_fmac_f32_e32 v17, v9, v12
	v_add_co_ci_u32_e32 v9, vcc_lo, 0, v70, vcc_lo
	ds_write2_b64 v152, v[14:15], v[16:17] offset0:20 offset1:216
	global_load_dwordx2 v[16:17], v[8:9], off offset:192
	ds_read2_b64 v[12:15], v50 offset0:40 offset1:236
	s_waitcnt vmcnt(0) lgkmcnt(0)
	v_mul_f32_e32 v20, v13, v17
	v_mul_f32_e32 v21, v12, v17
	v_fma_f32 v20, v12, v16, -v20
	v_add_co_u32 v12, vcc_lo, 0x10000, v68
	v_fmac_f32_e32 v21, v13, v16
	v_add_co_ci_u32_e32 v13, vcc_lo, 0, v70, vcc_lo
	ds_write2_b64 v153, v[18:19], v[20:21] offset0:36 offset1:232
	global_load_dwordx2 v[20:21], v[12:13], off offset:320
	ds_read2_b64 v[16:19], v49 offset0:56 offset1:252
	ds_read2_b64 v[150:153], v43 offset0:24 offset1:220
	v_mov_b32_e32 v49, v173
	v_mov_b32_e32 v43, v164
	s_waitcnt vmcnt(0) lgkmcnt(1)
	v_mul_f32_e32 v28, v17, v21
	v_mul_f32_e32 v29, v16, v21
	v_fma_f32 v28, v16, v20, -v28
	v_add_co_u32 v16, vcc_lo, 0x11800, v68
	v_fmac_f32_e32 v29, v17, v20
	v_add_co_ci_u32_e32 v17, vcc_lo, 0, v70, vcc_lo
	ds_write2_b64 v160, v[22:23], v[28:29] offset0:52 offset1:248
	global_load_dwordx2 v[28:29], v[16:17], off offset:448
	ds_read2_b64 v[20:23], v48 offset0:8 offset1:204
	v_mov_b32_e32 v48, v52
	s_waitcnt vmcnt(0) lgkmcnt(0)
	v_mul_f32_e32 v148, v21, v29
	v_mul_f32_e32 v149, v20, v29
	v_fma_f32 v148, v20, v28, -v148
	v_add_co_u32 v20, vcc_lo, 0x13000, v68
	v_fmac_f32_e32 v149, v21, v28
	v_add_co_ci_u32_e32 v21, vcc_lo, 0, v70, vcc_lo
	ds_write2_b64 v161, v[26:27], v[148:149] offset0:4 offset1:200
	global_load_dwordx2 v[20:21], v[20:21], off offset:576
	s_waitcnt vmcnt(0)
	v_mul_f32_e32 v26, v151, v21
	v_mul_f32_e32 v27, v150, v21
	v_fma_f32 v26, v150, v20, -v26
	v_fmac_f32_e32 v27, v151, v20
	v_add_co_u32 v20, vcc_lo, 0x14800, v68
	v_add_co_ci_u32_e32 v21, vcc_lo, 0, v70, vcc_lo
	ds_read2_b64 v[148:151], v41 offset0:40 offset1:236
	ds_write2_b64 v162, v[30:31], v[26:27] offset0:20 offset1:216
	v_mov_b32_e32 v41, v168
	global_load_dwordx2 v[20:21], v[20:21], off offset:704
	s_waitcnt vmcnt(0) lgkmcnt(1)
	v_mul_f32_e32 v26, v149, v21
	v_mul_f32_e32 v27, v148, v21
	v_fma_f32 v26, v148, v20, -v26
	v_fmac_f32_e32 v27, v149, v20
	v_add_co_u32 v20, vcc_lo, 0xb800, v68
	v_add_co_ci_u32_e32 v21, vcc_lo, 0, v70, vcc_lo
	ds_write2_b64 v163, v[24:25], v[26:27] offset0:36 offset1:232
	global_load_dwordx2 v[20:21], v[20:21], off offset:1504
	s_waitcnt vmcnt(0)
	v_mul_f32_e32 v24, v7, v21
	v_mul_f32_e32 v25, v6, v21
	v_fma_f32 v24, v6, v20, -v24
	v_fmac_f32_e32 v25, v7, v20
	v_add_nc_u32_e32 v6, 0x1200, v69
	v_mul_f32_e32 v7, v10, v5
	ds_write2_b64 v6, v[24:25], v[32:33] offset0:12 offset1:208
	v_mul_f32_e32 v6, v11, v5
	v_fmac_f32_e32 v7, v11, v4
	v_fma_f32 v6, v10, v4, -v6
	v_add_nc_u32_e32 v4, 0x2a00, v69
	ds_write2_b64 v4, v[6:7], v[34:35] offset0:28 offset1:224
	global_load_dwordx2 v[4:5], v[8:9], off offset:1760
	s_waitcnt vmcnt(0)
	v_mul_f32_e32 v6, v15, v5
	v_mul_f32_e32 v7, v14, v5
	v_fma_f32 v6, v14, v4, -v6
	v_fmac_f32_e32 v7, v15, v4
	v_add_nc_u32_e32 v4, 0x4200, v69
	ds_write2_b64 v4, v[6:7], v[154:155] offset0:44 offset1:240
	global_load_dwordx2 v[4:5], v[12:13], off offset:1888
	s_waitcnt vmcnt(0)
	v_mul_f32_e32 v6, v19, v5
	v_mul_f32_e32 v7, v18, v5
	v_fma_f32 v6, v18, v4, -v6
	v_fmac_f32_e32 v7, v19, v4
	v_add_nc_u32_e32 v4, 0x5b00, v69
	ds_write2_b64 v4, v[6:7], v[156:157] offset0:28 offset1:224
	global_load_dwordx2 v[4:5], v[16:17], off offset:2016
	s_waitcnt vmcnt(0)
	v_mul_f32_e32 v6, v23, v5
	v_mul_f32_e32 v7, v22, v5
	;; [unrolled: 1-line block ×3, first 2 shown]
	v_fma_f32 v6, v22, v4, -v6
	v_fmac_f32_e32 v7, v23, v4
	v_add_nc_u32_e32 v4, 0x7400, v69
	v_fmac_f32_e32 v5, v153, v2
	ds_write2_b64 v4, v[6:7], v[158:159] offset0:12 offset1:208
	v_mul_f32_e32 v4, v153, v3
	v_fma_f32 v4, v152, v2, -v4
	v_add_nc_u32_e32 v2, 0x8c00, v69
	ds_write2_b64 v2, v[4:5], v[0:1] offset0:28 offset1:224
	v_add_co_u32 v0, vcc_lo, 0x15000, v68
	v_add_co_ci_u32_e32 v1, vcc_lo, 0, v70, vcc_lo
	global_load_dwordx2 v[0:1], v[0:1], off offset:224
	s_waitcnt vmcnt(0)
	v_mul_f32_e32 v2, v151, v1
	v_mul_f32_e32 v3, v150, v1
	v_fma_f32 v2, v150, v0, -v2
	v_fmac_f32_e32 v3, v151, v0
	ds_write_b64 v69, v[2:3] offset:42336
	s_waitcnt lgkmcnt(0)
	s_barrier
	buffer_gl0_inv
	ds_read2_b64 v[2:5], v69 offset1:196
	ds_read2_b64 v[6:9], v191 offset0:16 offset1:212
	ds_read2_b64 v[10:13], v168 offset0:32 offset1:228
	;; [unrolled: 1-line block ×3, first 2 shown]
	ds_read2_b64 v[24:27], v190 offset1:196
	ds_read2_b64 v[28:31], v52 offset0:16 offset1:212
	ds_read2_b64 v[32:35], v71 offset0:32 offset1:228
	;; [unrolled: 1-line block ×6, first 2 shown]
	v_mov_b32_e32 v52, v165
	ds_read2_b64 v[156:159], v164 offset0:8 offset1:204
	ds_read2_b64 v[164:167], v40 offset0:24 offset1:220
	ds_read2_b64 v[172:175], v176 offset0:40 offset1:236
	v_mov_b32_e32 v42, v176
	s_waitcnt lgkmcnt(0)
	s_barrier
	buffer_gl0_inv
	v_mov_b32_e32 v54, v52
	v_add_f32_e32 v16, v20, v24
	v_add_f32_e32 v0, v6, v32
	;; [unrolled: 1-line block ×5, first 2 shown]
	v_sub_f32_e32 v6, v6, v32
	v_sub_f32_e32 v7, v7, v33
	;; [unrolled: 1-line block ×4, first 2 shown]
	v_add_f32_e32 v17, v21, v25
	v_sub_f32_e32 v18, v24, v20
	v_sub_f32_e32 v19, v25, v21
	v_add_f32_e32 v20, v14, v0
	v_add_f32_e32 v21, v15, v1
	v_sub_f32_e32 v24, v14, v0
	v_sub_f32_e32 v25, v15, v1
	;; [unrolled: 1-line block ×6, first 2 shown]
	v_add_f32_e32 v28, v18, v10
	v_add_f32_e32 v29, v19, v11
	v_sub_f32_e32 v32, v18, v10
	v_sub_f32_e32 v33, v19, v11
	;; [unrolled: 1-line block ×4, first 2 shown]
	v_add_f32_e32 v16, v16, v20
	v_add_f32_e32 v17, v17, v21
	v_sub_f32_e32 v18, v6, v18
	v_sub_f32_e32 v19, v7, v19
	v_add_f32_e32 v6, v28, v6
	v_add_f32_e32 v7, v29, v7
	;; [unrolled: 1-line block ×4, first 2 shown]
	v_mul_f32_e32 v0, 0x3f4a47b2, v0
	v_mul_f32_e32 v1, 0x3f4a47b2, v1
	v_mul_f32_e32 v28, 0x3f08b237, v32
	v_mul_f32_e32 v29, 0x3f08b237, v33
	v_mul_f32_e32 v32, 0x3f5ff5aa, v10
	v_mul_f32_e32 v33, 0x3f5ff5aa, v11
	v_mul_f32_e32 v20, 0x3d64c772, v14
	v_mul_f32_e32 v21, 0x3d64c772, v15
	v_fmamk_f32 v16, v16, 0xbf955555, v2
	v_fmamk_f32 v17, v17, 0xbf955555, v3
	;; [unrolled: 1-line block ×4, first 2 shown]
	v_fma_f32 v0, 0xbf3bfb3b, v24, -v0
	v_fma_f32 v1, 0xbf3bfb3b, v25, -v1
	v_fmac_f32_e32 v32, 0x3eae86e6, v18
	v_fmac_f32_e32 v33, 0x3eae86e6, v19
	v_fma_f32 v20, 0x3f3bfb3b, v24, -v20
	v_fma_f32 v21, 0x3f3bfb3b, v25, -v21
	v_fmamk_f32 v24, v18, 0xbeae86e6, v28
	v_fmamk_f32 v25, v19, 0xbeae86e6, v29
	v_fma_f32 v10, 0xbf5ff5aa, v10, -v28
	v_fma_f32 v11, 0xbf5ff5aa, v11, -v29
	v_add_f32_e32 v0, v0, v16
	v_add_f32_e32 v1, v1, v17
	v_fmac_f32_e32 v32, 0xbee1c552, v6
	v_fmac_f32_e32 v33, 0xbee1c552, v7
	v_add_f32_e32 v14, v14, v16
	v_add_f32_e32 v15, v15, v17
	;; [unrolled: 1-line block ×4, first 2 shown]
	v_fmac_f32_e32 v24, 0xbee1c552, v6
	v_fmac_f32_e32 v25, 0xbee1c552, v7
	;; [unrolled: 1-line block ×4, first 2 shown]
	v_add_f32_e32 v20, v33, v0
	v_sub_f32_e32 v21, v1, v32
	v_sub_f32_e32 v176, v0, v33
	v_add_f32_e32 v177, v32, v1
	v_add_f32_e32 v0, v8, v34
	v_add_f32_e32 v1, v9, v35
	v_sub_f32_e32 v6, v8, v34
	v_sub_f32_e32 v7, v9, v35
	v_add_f32_e32 v8, v12, v30
	v_add_f32_e32 v9, v13, v31
	;; [unrolled: 5-line block ×3, first 2 shown]
	v_sub_f32_e32 v179, v29, v10
	v_sub_f32_e32 v184, v14, v25
	v_add_f32_e32 v185, v24, v15
	v_sub_f32_e32 v10, v12, v30
	v_sub_f32_e32 v11, v13, v31
	v_add_f32_e32 v12, v22, v26
	v_add_f32_e32 v13, v23, v27
	v_sub_f32_e32 v14, v26, v22
	v_sub_f32_e32 v15, v27, v23
	v_add_f32_e32 v22, v8, v0
	v_add_f32_e32 v23, v9, v1
	v_sub_f32_e32 v24, v8, v0
	v_sub_f32_e32 v25, v9, v1
	v_sub_f32_e32 v26, v0, v12
	v_sub_f32_e32 v27, v1, v13
	v_sub_f32_e32 v8, v12, v8
	v_sub_f32_e32 v9, v13, v9
	v_add_f32_e32 v0, v14, v10
	v_add_f32_e32 v1, v15, v11
	v_sub_f32_e32 v28, v14, v10
	v_sub_f32_e32 v29, v15, v11
	;; [unrolled: 1-line block ×4, first 2 shown]
	v_add_f32_e32 v12, v12, v22
	v_add_f32_e32 v13, v13, v23
	v_sub_f32_e32 v14, v6, v14
	v_sub_f32_e32 v15, v7, v15
	v_add_f32_e32 v6, v0, v6
	v_add_f32_e32 v7, v1, v7
	;; [unrolled: 1-line block ×4, first 2 shown]
	v_mul_f32_e32 v4, 0x3f4a47b2, v26
	v_mul_f32_e32 v5, 0x3f4a47b2, v27
	;; [unrolled: 1-line block ×8, first 2 shown]
	v_fmamk_f32 v12, v12, 0xbf955555, v0
	v_fmamk_f32 v13, v13, 0xbf955555, v1
	;; [unrolled: 1-line block ×4, first 2 shown]
	v_fma_f32 v22, 0x3f3bfb3b, v24, -v22
	v_fma_f32 v23, 0x3f3bfb3b, v25, -v23
	;; [unrolled: 1-line block ×6, first 2 shown]
	v_fmac_f32_e32 v28, 0x3eae86e6, v14
	v_fmac_f32_e32 v29, 0x3eae86e6, v15
	v_fmamk_f32 v24, v14, 0xbeae86e6, v26
	v_fmamk_f32 v25, v15, 0xbeae86e6, v27
	v_add_f32_e32 v22, v22, v12
	v_add_f32_e32 v23, v23, v13
	;; [unrolled: 1-line block ×4, first 2 shown]
	v_fmac_f32_e32 v10, 0xbee1c552, v6
	v_fmac_f32_e32 v11, 0xbee1c552, v7
	;; [unrolled: 1-line block ×4, first 2 shown]
	v_add_f32_e32 v14, v8, v12
	v_add_f32_e32 v15, v9, v13
	v_fmac_f32_e32 v24, 0xbee1c552, v6
	v_fmac_f32_e32 v25, 0xbee1c552, v7
	v_add_f32_e32 v8, v29, v26
	v_sub_f32_e32 v9, v27, v28
	v_sub_f32_e32 v6, v22, v11
	v_add_f32_e32 v7, v10, v23
	v_add_f32_e32 v12, v11, v22
	v_sub_f32_e32 v13, v23, v10
	v_sub_f32_e32 v10, v26, v29
	v_add_f32_e32 v11, v28, v27
	v_add_f32_e32 v22, v168, v172
	;; [unrolled: 1-line block ×6, first 2 shown]
	v_sub_f32_e32 v14, v14, v25
	v_sub_f32_e32 v25, v169, v173
	;; [unrolled: 1-line block ×4, first 2 shown]
	v_add_f32_e32 v30, v152, v156
	v_add_f32_e32 v31, v153, v157
	v_sub_f32_e32 v32, v156, v152
	v_sub_f32_e32 v33, v157, v153
	v_add_f32_e32 v34, v26, v22
	v_add_f32_e32 v35, v27, v23
	v_sub_f32_e32 v68, v26, v22
	v_sub_f32_e32 v70, v27, v23
	;; [unrolled: 1-line block ×6, first 2 shown]
	v_add_f32_e32 v153, v33, v29
	v_sub_f32_e32 v156, v32, v28
	v_sub_f32_e32 v157, v33, v29
	;; [unrolled: 1-line block ×3, first 2 shown]
	v_add_f32_e32 v30, v30, v34
	v_add_f32_e32 v31, v31, v35
	v_sub_f32_e32 v5, v15, v24
	v_add_f32_e32 v15, v24, v15
	v_sub_f32_e32 v24, v168, v172
	v_sub_f32_e32 v33, v25, v33
	v_add_f32_e32 v168, v148, v30
	v_add_f32_e32 v169, v149, v31
	v_mul_f32_e32 v22, 0x3f4a47b2, v22
	v_mul_f32_e32 v23, 0x3f4a47b2, v23
	;; [unrolled: 1-line block ×6, first 2 shown]
	v_add_f32_e32 v152, v32, v28
	v_sub_f32_e32 v28, v28, v24
	v_add_f32_e32 v25, v153, v25
	v_mul_f32_e32 v34, 0x3d64c772, v26
	v_fmamk_f32 v30, v30, 0xbf955555, v168
	v_fmamk_f32 v26, v26, 0x3d64c772, v22
	;; [unrolled: 1-line block ×3, first 2 shown]
	v_fma_f32 v35, 0x3f3bfb3b, v70, -v35
	v_fma_f32 v22, 0xbf3bfb3b, v68, -v22
	;; [unrolled: 1-line block ×3, first 2 shown]
	v_fmamk_f32 v70, v33, 0xbeae86e6, v149
	v_fmac_f32_e32 v156, 0x3eae86e6, v33
	v_sub_f32_e32 v32, v24, v32
	v_add_f32_e32 v24, v152, v24
	v_mul_f32_e32 v157, 0x3f5ff5aa, v28
	v_fmamk_f32 v31, v31, 0xbf955555, v169
	v_fma_f32 v34, 0x3f3bfb3b, v68, -v34
	v_fma_f32 v28, 0xbf5ff5aa, v28, -v148
	;; [unrolled: 1-line block ×3, first 2 shown]
	v_add_f32_e32 v26, v26, v30
	v_add_f32_e32 v22, v22, v30
	v_fmac_f32_e32 v70, 0xbee1c552, v25
	v_fmac_f32_e32 v156, 0xbee1c552, v25
	v_fmamk_f32 v68, v32, 0xbeae86e6, v148
	v_fmac_f32_e32 v157, 0x3eae86e6, v32
	v_add_f32_e32 v32, v34, v30
	v_add_f32_e32 v33, v35, v31
	v_fmac_f32_e32 v28, 0xbee1c552, v24
	v_fmac_f32_e32 v29, 0xbee1c552, v25
	v_add_f32_e32 v172, v26, v70
	v_add_f32_e32 v160, v156, v22
	v_sub_f32_e32 v156, v22, v156
	v_sub_f32_e32 v148, v26, v70
	v_add_f32_e32 v22, v170, v174
	v_add_f32_e32 v26, v162, v166
	;; [unrolled: 1-line block ×3, first 2 shown]
	v_fmac_f32_e32 v68, 0xbee1c552, v24
	v_sub_f32_e32 v164, v32, v29
	v_add_f32_e32 v165, v28, v33
	v_add_f32_e32 v152, v29, v32
	v_sub_f32_e32 v153, v33, v28
	v_sub_f32_e32 v25, v171, v175
	;; [unrolled: 1-line block ×4, first 2 shown]
	v_add_f32_e32 v30, v154, v158
	v_sub_f32_e32 v32, v158, v154
	v_sub_f32_e32 v33, v159, v155
	v_add_f32_e32 v34, v26, v22
	v_add_f32_e32 v23, v23, v31
	v_sub_f32_e32 v173, v27, v68
	v_add_f32_e32 v149, v68, v27
	v_add_f32_e32 v31, v155, v159
	v_sub_f32_e32 v68, v26, v22
	v_sub_f32_e32 v22, v22, v30
	;; [unrolled: 1-line block ×3, first 2 shown]
	v_add_f32_e32 v155, v33, v29
	v_sub_f32_e32 v158, v32, v28
	v_sub_f32_e32 v159, v33, v29
	;; [unrolled: 1-line block ×3, first 2 shown]
	v_add_f32_e32 v30, v30, v34
	v_fmac_f32_e32 v157, 0xbee1c552, v24
	v_sub_f32_e32 v24, v170, v174
	v_sub_f32_e32 v33, v25, v33
	v_mul_f32_e32 v22, 0x3f4a47b2, v22
	v_add_f32_e32 v170, v150, v30
	v_mul_f32_e32 v150, 0x3f08b237, v158
	v_mul_f32_e32 v158, 0x3f5ff5aa, v29
	v_add_f32_e32 v25, v155, v25
	v_mul_f32_e32 v34, 0x3d64c772, v26
	v_fmamk_f32 v30, v30, 0xbf955555, v170
	v_fmamk_f32 v26, v26, 0x3d64c772, v22
	v_fma_f32 v22, 0xbf3bfb3b, v68, -v22
	v_fmac_f32_e32 v158, 0x3eae86e6, v33
	v_sub_f32_e32 v161, v23, v157
	v_add_f32_e32 v157, v157, v23
	v_add_f32_e32 v23, v171, v175
	;; [unrolled: 1-line block ×3, first 2 shown]
	v_fmac_f32_e32 v158, 0xbee1c552, v25
	v_add_f32_e32 v27, v163, v167
	v_add_f32_e32 v154, v32, v28
	v_sub_f32_e32 v28, v28, v24
	v_sub_f32_e32 v32, v24, v32
	v_add_f32_e32 v162, v158, v22
	v_sub_f32_e32 v158, v22, v158
	buffer_load_dword v22, off, s[20:23], 0 offset:232 ; 4-byte Folded Reload
	s_waitcnt vmcnt(0)
	ds_write2_b64 v22, v[2:3], v[16:17] offset1:1
	ds_write2_b64 v22, v[20:21], v[18:19] offset0:2 offset1:3
	ds_write2_b64 v22, v[178:179], v[176:177] offset0:4 offset1:5
	ds_write_b64 v22, v[184:185] offset:48
	buffer_load_dword v2, off, s[20:23], 0 offset:228 ; 4-byte Folded Reload
	s_waitcnt vmcnt(0)
	ds_write2_b64 v2, v[0:1], v[4:5] offset1:1
	ds_write2_b64 v2, v[8:9], v[6:7] offset0:2 offset1:3
	ds_write2_b64 v2, v[12:13], v[10:11] offset0:4 offset1:5
	ds_write_b64 v2, v[14:15] offset:48
	;; [unrolled: 6-line block ×3, first 2 shown]
	buffer_load_dword v0, off, s[20:23], 0 offset:220 ; 4-byte Folded Reload
	v_add_f32_e32 v35, v27, v23
	v_sub_f32_e32 v70, v27, v23
	v_sub_f32_e32 v23, v23, v31
	;; [unrolled: 1-line block ×3, first 2 shown]
	v_add_f32_e32 v24, v154, v24
	v_add_f32_e32 v31, v31, v35
	v_fma_f32 v34, 0x3f3bfb3b, v68, -v34
	v_mul_f32_e32 v23, 0x3f4a47b2, v23
	v_mul_f32_e32 v35, 0x3d64c772, v27
	v_fmamk_f32 v68, v32, 0xbeae86e6, v150
	v_add_f32_e32 v171, v151, v31
	v_mul_f32_e32 v151, 0x3f08b237, v159
	v_mul_f32_e32 v159, 0x3f5ff5aa, v28
	v_fmamk_f32 v27, v27, 0x3d64c772, v23
	v_fma_f32 v35, 0x3f3bfb3b, v70, -v35
	v_fmamk_f32 v31, v31, 0xbf955555, v171
	v_fma_f32 v23, 0xbf3bfb3b, v70, -v23
	;; [unrolled: 2-line block ×3, first 2 shown]
	v_fma_f32 v29, 0xbf5ff5aa, v29, -v151
	v_fmac_f32_e32 v159, 0x3eae86e6, v32
	v_add_f32_e32 v26, v26, v30
	v_add_f32_e32 v27, v27, v31
	v_fmac_f32_e32 v68, 0xbee1c552, v24
	v_fmac_f32_e32 v70, 0xbee1c552, v25
	v_add_f32_e32 v32, v34, v30
	v_add_f32_e32 v33, v35, v31
	;; [unrolled: 1-line block ×3, first 2 shown]
	v_fmac_f32_e32 v28, 0xbee1c552, v24
	v_fmac_f32_e32 v29, 0xbee1c552, v25
	;; [unrolled: 1-line block ×3, first 2 shown]
	v_add_f32_e32 v174, v26, v70
	v_sub_f32_e32 v175, v27, v68
	v_add_f32_e32 v167, v28, v33
	v_sub_f32_e32 v166, v32, v29
	v_sub_f32_e32 v163, v23, v159
	v_add_f32_e32 v154, v29, v32
	v_sub_f32_e32 v155, v33, v28
	v_add_f32_e32 v159, v159, v23
	;; [unrolled: 2-line block ×3, first 2 shown]
	s_waitcnt vmcnt(0)
	ds_write2_b64 v0, v[170:171], v[174:175] offset1:1
	ds_write2_b64 v0, v[162:163], v[166:167] offset0:2 offset1:3
	ds_write2_b64 v0, v[154:155], v[158:159] offset0:4 offset1:5
	ds_write_b64 v0, v[150:151] offset:48
	s_waitcnt lgkmcnt(0)
	s_barrier
	buffer_gl0_inv
	ds_read2_b64 v[160:163], v69 offset1:196
	ds_read2_b64 v[148:151], v49 offset0:24 offset1:220
	ds_read2_b64 v[6:9], v52 offset0:56 offset1:252
	;; [unrolled: 1-line block ×6, first 2 shown]
	ds_read2_b64 v[22:25], v190 offset1:196
	ds_read2_b64 v[26:29], v50 offset0:40 offset1:236
	ds_read2_b64 v[30:33], v71 offset0:32 offset1:228
	;; [unrolled: 1-line block ×6, first 2 shown]
	s_clause 0x1
	buffer_load_dword v1, off, s[20:23], 0 offset:344
	buffer_load_dword v2, off, s[20:23], 0 offset:348
	v_mov_b32_e32 v52, v48
	v_mov_b32_e32 v48, v40
	;; [unrolled: 1-line block ×4, first 2 shown]
	s_waitcnt lgkmcnt(12)
	v_mul_f32_e32 v0, v239, v150
	s_waitcnt lgkmcnt(11)
	v_mul_f32_e32 v34, v241, v7
	v_mul_f32_e32 v3, v209, v8
	s_waitcnt lgkmcnt(1)
	v_mul_f32_e32 v184, v37, v169
	v_mul_f32_e32 v4, v239, v151
	v_fma_f32 v5, v238, v151, -v0
	v_mul_f32_e32 v0, v241, v6
	v_fmac_f32_e32 v34, v240, v6
	v_fma_f32 v3, v208, v9, -v3
	v_fmac_f32_e32 v184, v36, v168
	v_fmac_f32_e32 v4, v238, v150
	v_fma_f32 v35, v240, v7, -v0
	v_mul_f32_e32 v176, v221, v165
	v_sub_f32_e32 v3, v163, v3
	v_mul_f32_e32 v68, v219, v29
	v_fmac_f32_e32 v176, v220, v164
	v_fmac_f32_e32 v68, v218, v28
	s_waitcnt vmcnt(0)
	v_mul_f32_e32 v0, v2, v12
	v_mul_f32_e32 v6, v2, v13
	;; [unrolled: 1-line block ×4, first 2 shown]
	v_fma_f32 v7, v1, v13, -v0
	v_mul_f32_e32 v13, v243, v16
	v_fmac_f32_e32 v6, v1, v12
	v_fmac_f32_e32 v2, v208, v8
	v_mul_f32_e32 v8, v233, v19
	v_mul_f32_e32 v12, v243, v17
	v_fma_f32 v13, v242, v17, -v13
	v_mul_f32_e32 v17, v231, v20
	v_fma_f32 v9, v232, v19, -v9
	v_fmac_f32_e32 v8, v232, v18
	v_fmac_f32_e32 v12, v242, v16
	v_mul_f32_e32 v16, v231, v21
	v_fma_f32 v17, v230, v21, -v17
	v_mul_f32_e32 v18, v247, v27
	v_mul_f32_e32 v21, v249, v24
	v_mul_f32_e32 v19, v247, v26
	v_fmac_f32_e32 v16, v230, v20
	v_mul_f32_e32 v20, v249, v25
	v_fmac_f32_e32 v18, v246, v26
	v_fma_f32 v21, v248, v25, -v21
	s_clause 0x1
	buffer_load_dword v25, off, s[20:23], 0 offset:352
	buffer_load_dword v26, off, s[20:23], 0 offset:356
	v_mul_f32_e32 v0, v207, v15
	v_fmac_f32_e32 v20, v248, v24
	v_mul_f32_e32 v24, v219, v28
	v_mul_f32_e32 v1, v207, v14
	v_sub_f32_e32 v6, v4, v6
	v_fmac_f32_e32 v0, v206, v14
	v_sub_f32_e32 v7, v5, v7
	v_fma_f32 v70, v218, v29, -v24
	v_mul_f32_e32 v24, v221, v164
	v_fma_f32 v1, v206, v15, -v1
	s_waitcnt lgkmcnt(0)
	v_mul_f32_e32 v206, v205, v173
	v_fma_f32 v4, v4, 2.0, -v6
	v_fma_f32 v5, v5, 2.0, -v7
	v_fma_f32 v177, v220, v165, -v24
	v_sub_f32_e32 v2, v162, v2
	v_fmac_f32_e32 v206, v204, v172
	v_mul_f32_e32 v15, v245, v22
	v_mul_f32_e32 v14, v245, v23
	v_fma_f32 v19, v246, v27, -v19
	v_fma_f32 v15, v244, v23, -v15
	v_fmac_f32_e32 v14, v244, v22
	v_mul_f32_e32 v22, v227, v31
	v_mul_f32_e32 v23, v227, v30
	v_fmac_f32_e32 v22, v226, v30
	v_fma_f32 v23, v226, v31, -v23
	s_waitcnt vmcnt(0)
	v_mul_f32_e32 v24, v26, v32
	v_mul_f32_e32 v178, v26, v33
	v_fma_f32 v179, v25, v33, -v24
	v_mul_f32_e32 v24, v37, v168
	v_fmac_f32_e32 v178, v25, v32
	v_fma_f32 v168, v36, v169, -v24
	v_mul_f32_e32 v24, v39, v166
	v_mul_f32_e32 v169, v39, v167
	v_fma_f32 v185, v38, v167, -v24
	v_mul_f32_e32 v24, v205, v172
	v_fmac_f32_e32 v169, v38, v166
	v_fma_f32 v172, v204, v173, -v24
	v_mul_f32_e32 v173, v45, v171
	v_mul_f32_e32 v24, v45, v170
	v_fmac_f32_e32 v173, v44, v170
	v_fma_f32 v170, v44, v171, -v24
	s_clause 0x1
	buffer_load_dword v24, off, s[20:23], 0 offset:332
	buffer_load_dword v25, off, s[20:23], 0 offset:336
	v_mul_f32_e32 v171, v47, v11
	s_waitcnt vmcnt(0)
	s_barrier
	buffer_gl0_inv
	v_fmac_f32_e32 v171, v46, v10
	v_mul_f32_e32 v10, v47, v10
	v_fma_f32 v204, v46, v11, -v10
	v_sub_f32_e32 v11, v161, v35
	v_sub_f32_e32 v37, v11, v6
	;; [unrolled: 1-line block ×3, first 2 shown]
	v_fma_f32 v39, v11, 2.0, -v37
	v_fma_f32 v0, v0, 2.0, -v6
	v_sub_f32_e32 v151, v3, v6
	v_mul_f32_e32 v205, v25, v175
	v_mul_f32_e32 v10, v25, v174
	v_fma_f32 v25, v161, 2.0, -v11
	v_fma_f32 v161, v3, 2.0, -v151
	v_fmac_f32_e32 v205, v24, v174
	v_fma_f32 v174, v24, v175, -v10
	v_sub_f32_e32 v10, v160, v34
	v_sub_f32_e32 v33, v25, v5
	v_fma_f32 v5, v163, 2.0, -v3
	v_mov_b32_e32 v175, v190
	v_fma_f32 v24, v160, 2.0, -v10
	v_add_f32_e32 v36, v10, v7
	v_sub_f32_e32 v7, v1, v9
	v_fma_f32 v35, v25, 2.0, -v33
	v_sub_f32_e32 v32, v24, v4
	v_fma_f32 v4, v162, 2.0, -v2
	v_fma_f32 v1, v1, 2.0, -v7
	v_add_f32_e32 v150, v2, v7
	v_fma_f32 v38, v10, 2.0, -v36
	v_fma_f32 v34, v24, 2.0, -v32
	v_sub_f32_e32 v44, v4, v0
	v_sub_f32_e32 v45, v5, v1
	;; [unrolled: 1-line block ×4, first 2 shown]
	v_fma_f32 v160, v2, 2.0, -v150
	v_fma_f32 v46, v4, 2.0, -v44
	;; [unrolled: 1-line block ×3, first 2 shown]
	v_sub_f32_e32 v4, v12, v16
	v_sub_f32_e32 v5, v13, v17
	v_fma_f32 v3, v157, 2.0, -v1
	v_fma_f32 v2, v156, 2.0, -v0
	v_sub_f32_e32 v165, v1, v4
	v_fma_f32 v7, v13, 2.0, -v5
	v_fma_f32 v6, v12, 2.0, -v4
	v_add_f32_e32 v164, v0, v5
	v_sub_f32_e32 v4, v18, v22
	v_fma_f32 v167, v1, 2.0, -v165
	v_sub_f32_e32 v157, v3, v7
	v_sub_f32_e32 v1, v159, v21
	;; [unrolled: 1-line block ×3, first 2 shown]
	v_fma_f32 v166, v0, 2.0, -v164
	v_sub_f32_e32 v0, v158, v20
	v_fma_f32 v163, v3, 2.0, -v157
	v_fma_f32 v3, v159, 2.0, -v1
	;; [unrolled: 1-line block ×3, first 2 shown]
	v_sub_f32_e32 v27, v1, v4
	v_sub_f32_e32 v156, v2, v6
	v_fma_f32 v6, v18, 2.0, -v4
	v_add_f32_e32 v26, v0, v5
	v_sub_f32_e32 v25, v3, v7
	v_fma_f32 v31, v1, 2.0, -v27
	v_sub_f32_e32 v1, v153, v177
	v_sub_f32_e32 v4, v68, v178
	;; [unrolled: 1-line block ×3, first 2 shown]
	v_fma_f32 v162, v2, 2.0, -v156
	v_fma_f32 v2, v158, 2.0, -v0
	;; [unrolled: 1-line block ×4, first 2 shown]
	v_sub_f32_e32 v0, v152, v176
	v_fma_f32 v3, v153, 2.0, -v1
	v_fma_f32 v7, v70, 2.0, -v5
	v_sub_f32_e32 v19, v1, v4
	v_sub_f32_e32 v24, v2, v6
	v_add_f32_e32 v18, v0, v5
	v_sub_f32_e32 v5, v168, v172
	v_sub_f32_e32 v17, v3, v7
	v_fma_f32 v23, v1, 2.0, -v19
	v_sub_f32_e32 v1, v155, v185
	v_fma_f32 v6, v68, 2.0, -v4
	;; [unrolled: 2-line block ×3, first 2 shown]
	v_fma_f32 v7, v168, 2.0, -v5
	v_fma_f32 v3, v155, 2.0, -v1
	v_sub_f32_e32 v70, v170, v174
	v_sub_f32_e32 v11, v1, v4
	v_fma_f32 v28, v2, 2.0, -v24
	v_fma_f32 v2, v152, 2.0, -v0
	v_sub_f32_e32 v9, v3, v7
	v_sub_f32_e32 v7, v149, v204
	v_fma_f32 v22, v0, 2.0, -v18
	v_sub_f32_e32 v0, v154, v169
	v_fma_f32 v15, v1, 2.0, -v11
	v_fma_f32 v13, v3, 2.0, -v9
	;; [unrolled: 1-line block ×4, first 2 shown]
	v_sub_f32_e32 v16, v2, v6
	v_add_f32_e32 v10, v0, v5
	v_sub_f32_e32 v68, v173, v205
	v_fma_f32 v6, v184, 2.0, -v4
	v_sub_f32_e32 v1, v3, v1
	v_fma_f32 v20, v2, 2.0, -v16
	v_fma_f32 v2, v154, 2.0, -v0
	;; [unrolled: 1-line block ×5, first 2 shown]
	v_sub_f32_e32 v3, v7, v68
	buffer_load_dword v68, off, s[20:23], 0 offset:260 ; 4-byte Folded Reload
	s_waitcnt vmcnt(0)
	ds_write2_b64 v68, v[34:35], v[38:39] offset1:7
	ds_write2_b64 v68, v[32:33], v[36:37] offset0:14 offset1:21
	buffer_load_dword v32, off, s[20:23], 0 offset:256 ; 4-byte Folded Reload
	s_waitcnt vmcnt(0)
	ds_write2_b64 v32, v[46:47], v[160:161] offset1:7
	ds_write2_b64 v32, v[44:45], v[150:151] offset0:14 offset1:21
	;; [unrolled: 4-line block ×5, first 2 shown]
	buffer_load_dword v16, off, s[20:23], 0 offset:240 ; 4-byte Folded Reload
	v_sub_f32_e32 v8, v2, v6
	v_sub_f32_e32 v6, v148, v171
	v_fma_f32 v7, v7, 2.0, -v3
	v_mov_b32_e32 v177, v41
	v_mov_b32_e32 v174, v43
	v_fma_f32 v12, v2, 2.0, -v8
	s_waitcnt vmcnt(0)
	ds_write2_b64 v16, v[12:13], v[14:15] offset1:7
	ds_write2_b64 v16, v[8:9], v[10:11] offset0:14 offset1:21
	buffer_load_dword v8, off, s[20:23], 0 offset:236 ; 4-byte Folded Reload
	v_fma_f32 v2, v148, 2.0, -v6
	v_mov_b32_e32 v184, v51
	v_mov_b32_e32 v172, v40
	;; [unrolled: 1-line block ×4, first 2 shown]
	v_sub_f32_e32 v0, v2, v0
	v_mov_b32_e32 v178, v52
	v_mov_b32_e32 v179, v50
	;; [unrolled: 1-line block ×3, first 2 shown]
	v_fma_f32 v4, v2, 2.0, -v0
	v_add_f32_e32 v2, v6, v70
	v_fma_f32 v6, v6, 2.0, -v2
	s_waitcnt vmcnt(0)
	ds_write2_b64 v8, v[4:5], v[6:7] offset1:7
	ds_write2_b64 v8, v[0:1], v[2:3] offset0:14 offset1:21
	s_waitcnt lgkmcnt(0)
	s_barrier
	buffer_gl0_inv
	ds_read2_b64 v[4:7], v69 offset1:196
	ds_read2_b64 v[8:11], v191 offset0:16 offset1:212
	ds_read2_b64 v[25:28], v190 offset1:196
	ds_read2_b64 v[29:32], v52 offset0:16 offset1:212
	ds_read2_b64 v[12:15], v41 offset0:32 offset1:228
	;; [unrolled: 1-line block ×10, first 2 shown]
	v_mov_b32_e32 v190, v49
	ds_read2_b64 v[0:3], v51 offset0:8 offset1:204
	v_mov_b32_e32 v191, v54
	s_waitcnt lgkmcnt(0)
	s_barrier
	buffer_gl0_inv
	v_mul_f32_e32 v68, v235, v9
	v_mul_f32_e32 v20, v203, v25
	;; [unrolled: 1-line block ×5, first 2 shown]
	v_fmac_f32_e32 v68, v234, v8
	v_mul_f32_e32 v8, v235, v8
	v_fma_f32 v70, v202, v26, -v20
	v_mul_f32_e32 v20, v223, v29
	v_fmac_f32_e32 v168, v222, v29
	v_mul_f32_e32 v24, v193, v19
	v_fma_f32 v8, v234, v9, -v8
	v_mul_f32_e32 v9, v237, v13
	v_fma_f32 v29, v222, v30, -v20
	v_mul_f32_e32 v20, v225, v33
	v_mul_f32_e32 v30, v225, v34
	v_fmac_f32_e32 v24, v192, v18
	v_fmac_f32_e32 v9, v236, v12
	v_mul_f32_e32 v12, v237, v12
	v_fma_f32 v169, v224, v34, -v20
	v_mul_f32_e32 v20, v187, v11
	v_fmac_f32_e32 v30, v224, v33
	v_mul_f32_e32 v33, v61, v45
	v_fma_f32 v12, v236, v13, -v12
	v_mul_f32_e32 v13, v201, v17
	v_fmac_f32_e32 v20, v186, v10
	v_mul_f32_e32 v10, v187, v10
	v_fmac_f32_e32 v33, v60, v44
	v_fmac_f32_e32 v21, v188, v14
	;; [unrolled: 1-line block ×3, first 2 shown]
	v_mul_f32_e32 v16, v201, v16
	v_fma_f32 v22, v186, v11, -v10
	v_mul_f32_e32 v10, v189, v14
	v_add_f32_e32 v11, v8, v169
	v_sub_f32_e32 v14, v68, v30
	v_fma_f32 v16, v200, v17, -v16
	v_mul_f32_e32 v17, v203, v26
	v_fma_f32 v23, v188, v15, -v10
	v_mul_f32_e32 v10, v193, v18
	v_mul_f32_e32 v26, v195, v28
	v_add_f32_e32 v15, v9, v168
	v_fmac_f32_e32 v17, v202, v25
	v_add_f32_e32 v18, v12, v29
	v_fma_f32 v25, v192, v19, -v10
	v_mul_f32_e32 v10, v195, v27
	v_fmac_f32_e32 v26, v194, v27
	v_sub_f32_e32 v8, v8, v169
	v_sub_f32_e32 v9, v9, v168
	;; [unrolled: 1-line block ×3, first 2 shown]
	v_fma_f32 v27, v194, v28, -v10
	v_mul_f32_e32 v28, v197, v32
	v_mul_f32_e32 v10, v197, v31
	v_add_f32_e32 v19, v13, v17
	v_add_f32_e32 v29, v16, v70
	v_sub_f32_e32 v13, v17, v13
	v_fmac_f32_e32 v28, v196, v31
	v_fma_f32 v31, v196, v32, -v10
	v_mul_f32_e32 v10, v199, v35
	v_mul_f32_e32 v32, v57, v153
	v_sub_f32_e32 v16, v70, v16
	v_fmac_f32_e32 v170, v198, v35
	v_mul_f32_e32 v35, v63, v149
	v_fma_f32 v171, v198, v36, -v10
	v_mul_f32_e32 v10, v61, v44
	v_mul_f32_e32 v44, v73, v47
	;; [unrolled: 1-line block ×3, first 2 shown]
	v_fmac_f32_e32 v32, v56, v152
	v_sub_f32_e32 v61, v16, v12
	v_fma_f32 v38, v60, v45, -v10
	v_mul_f32_e32 v10, v63, v148
	v_fmac_f32_e32 v44, v72, v46
	v_fmac_f32_e32 v36, v58, v156
	v_sub_f32_e32 v60, v13, v9
	v_fmac_f32_e32 v35, v62, v148
	v_fma_f32 v39, v62, v149, -v10
	v_mul_f32_e32 v10, v57, v152
	v_sub_f32_e32 v57, v18, v11
	v_sub_f32_e32 v62, v8, v16
	v_mul_f32_e32 v40, v181, v161
	v_mul_f32_e32 v42, v183, v165
	v_fma_f32 v34, v56, v153, -v10
	v_mul_f32_e32 v10, v59, v156
	v_add_f32_e32 v59, v16, v12
	v_sub_f32_e32 v12, v12, v8
	v_fmac_f32_e32 v40, v180, v160
	v_fmac_f32_e32 v42, v182, v164
	v_fma_f32 v37, v58, v157, -v10
	v_mul_f32_e32 v10, v181, v160
	v_add_f32_e32 v58, v13, v9
	v_sub_f32_e32 v9, v9, v14
	v_sub_f32_e32 v13, v14, v13
	v_add_f32_e32 v8, v59, v8
	v_fma_f32 v41, v180, v161, -v10
	v_mul_f32_e32 v10, v183, v164
	v_add_f32_e32 v14, v58, v14
	v_mul_f32_e32 v58, 0x3f08b237, v61
	v_mul_f32_e32 v59, 0x3f5ff5aa, v9
	;; [unrolled: 1-line block ×3, first 2 shown]
	v_fma_f32 v43, v182, v165, -v10
	v_mul_f32_e32 v10, v73, v46
	v_mul_f32_e32 v52, v65, v163
	v_fmac_f32_e32 v59, 0x3eae86e6, v13
	v_mul_f32_e32 v54, v67, v167
	v_fmac_f32_e32 v45, v74, v150
	v_fma_f32 v46, v72, v47, -v10
	v_mul_f32_e32 v10, v75, v150
	v_fmac_f32_e32 v59, 0xbee1c552, v14
	v_mul_f32_e32 v48, v213, v155
	v_mul_f32_e32 v50, v215, v159
	v_fmac_f32_e32 v52, v64, v162
	v_fma_f32 v47, v74, v151, -v10
	v_mul_f32_e32 v10, v213, v154
	v_fmac_f32_e32 v54, v66, v166
	v_fmac_f32_e32 v48, v212, v154
	v_fmac_f32_e32 v50, v214, v158
	v_mov_b32_e32 v150, v71
	v_fma_f32 v49, v212, v155, -v10
	v_mul_f32_e32 v10, v215, v158
	v_fma_f32 v51, v214, v159, -v10
	v_mul_f32_e32 v10, v65, v162
	;; [unrolled: 2-line block ×3, first 2 shown]
	v_fma_f32 v55, v66, v167, -v10
	v_add_f32_e32 v10, v68, v30
	v_add_f32_e32 v30, v18, v11
	v_sub_f32_e32 v11, v11, v29
	v_sub_f32_e32 v18, v29, v18
	v_add_f32_e32 v17, v15, v10
	v_sub_f32_e32 v56, v15, v10
	v_sub_f32_e32 v10, v10, v19
	;; [unrolled: 1-line block ×3, first 2 shown]
	v_add_f32_e32 v29, v29, v30
	v_add_f32_e32 v19, v19, v17
	v_mul_f32_e32 v30, 0x3f08b237, v60
	v_mul_f32_e32 v60, 0x3f5ff5aa, v12
	v_add_f32_e32 v17, v5, v29
	v_add_f32_e32 v16, v4, v19
	v_mul_f32_e32 v4, 0x3f4a47b2, v10
	v_mul_f32_e32 v5, 0x3f4a47b2, v11
	;; [unrolled: 1-line block ×4, first 2 shown]
	v_fmamk_f32 v19, v19, 0xbf955555, v16
	v_fmamk_f32 v29, v29, 0xbf955555, v17
	;; [unrolled: 1-line block ×4, first 2 shown]
	v_fma_f32 v10, 0x3f3bfb3b, v56, -v10
	v_fma_f32 v11, 0x3f3bfb3b, v57, -v11
	;; [unrolled: 1-line block ×4, first 2 shown]
	v_fmamk_f32 v56, v13, 0xbeae86e6, v30
	v_fmamk_f32 v57, v62, 0xbeae86e6, v58
	v_fma_f32 v9, 0xbf5ff5aa, v9, -v30
	v_fma_f32 v30, 0xbf5ff5aa, v12, -v58
	v_fmac_f32_e32 v60, 0x3eae86e6, v62
	v_add_f32_e32 v58, v15, v19
	v_add_f32_e32 v61, v18, v29
	;; [unrolled: 1-line block ×6, first 2 shown]
	v_fmac_f32_e32 v56, 0xbee1c552, v14
	v_fmac_f32_e32 v57, 0xbee1c552, v8
	;; [unrolled: 1-line block ×5, first 2 shown]
	v_sub_f32_e32 v19, v61, v56
	v_add_f32_e32 v18, v57, v58
	v_sub_f32_e32 v13, v5, v59
	v_sub_f32_e32 v14, v10, v30
	v_add_f32_e32 v12, v60, v4
	v_add_f32_e32 v15, v9, v11
	;; [unrolled: 1-line block ×3, first 2 shown]
	v_sub_f32_e32 v9, v11, v9
	v_sub_f32_e32 v10, v4, v60
	v_add_f32_e32 v11, v59, v5
	v_sub_f32_e32 v4, v58, v57
	v_add_f32_e32 v5, v56, v61
	v_add_f32_e32 v29, v20, v170
	;; [unrolled: 1-line block ×5, first 2 shown]
	v_sub_f32_e32 v22, v22, v171
	v_sub_f32_e32 v21, v21, v28
	;; [unrolled: 1-line block ×3, first 2 shown]
	v_add_f32_e32 v28, v24, v26
	v_add_f32_e32 v31, v25, v27
	v_sub_f32_e32 v24, v26, v24
	v_sub_f32_e32 v25, v27, v25
	v_add_f32_e32 v26, v56, v29
	v_add_f32_e32 v27, v57, v30
	v_sub_f32_e32 v20, v20, v170
	v_sub_f32_e32 v58, v56, v29
	;; [unrolled: 1-line block ×6, first 2 shown]
	v_add_f32_e32 v29, v24, v21
	v_add_f32_e32 v61, v25, v23
	v_sub_f32_e32 v63, v25, v23
	v_sub_f32_e32 v23, v23, v22
	v_add_f32_e32 v26, v28, v26
	v_add_f32_e32 v27, v31, v27
	v_sub_f32_e32 v56, v28, v56
	v_sub_f32_e32 v62, v24, v21
	;; [unrolled: 1-line block ×5, first 2 shown]
	v_add_f32_e32 v20, v29, v20
	v_add_f32_e32 v22, v61, v22
	;; [unrolled: 1-line block ×4, first 2 shown]
	v_mul_f32_e32 v6, 0x3f4a47b2, v60
	v_mul_f32_e32 v7, 0x3f4a47b2, v30
	;; [unrolled: 1-line block ×8, first 2 shown]
	v_fmamk_f32 v26, v26, 0xbf955555, v28
	v_fmamk_f32 v56, v56, 0x3d64c772, v6
	;; [unrolled: 1-line block ×3, first 2 shown]
	v_fma_f32 v31, 0x3f3bfb3b, v59, -v31
	v_fma_f32 v6, 0xbf3bfb3b, v58, -v6
	;; [unrolled: 1-line block ×3, first 2 shown]
	v_fmamk_f32 v59, v25, 0xbeae86e6, v61
	v_fmac_f32_e32 v63, 0x3eae86e6, v25
	v_fmamk_f32 v27, v27, 0xbf955555, v29
	v_fma_f32 v30, 0x3f3bfb3b, v58, -v30
	v_fmamk_f32 v58, v24, 0xbeae86e6, v60
	v_fma_f32 v23, 0xbf5ff5aa, v23, -v61
	v_fmac_f32_e32 v62, 0x3eae86e6, v24
	v_add_f32_e32 v56, v56, v26
	v_add_f32_e32 v6, v6, v26
	v_fmac_f32_e32 v59, 0xbee1c552, v22
	v_fmac_f32_e32 v63, 0xbee1c552, v22
	v_fma_f32 v21, 0xbf5ff5aa, v21, -v60
	v_add_f32_e32 v57, v57, v27
	v_add_f32_e32 v60, v30, v26
	;; [unrolled: 1-line block ×3, first 2 shown]
	v_fmac_f32_e32 v58, 0xbee1c552, v20
	v_fmac_f32_e32 v23, 0xbee1c552, v22
	;; [unrolled: 1-line block ×3, first 2 shown]
	v_add_f32_e32 v30, v59, v56
	v_add_f32_e32 v24, v63, v6
	v_sub_f32_e32 v22, v6, v63
	v_sub_f32_e32 v6, v56, v59
	v_add_f32_e32 v56, v33, v42
	v_sub_f32_e32 v33, v33, v42
	v_add_f32_e32 v42, v35, v40
	v_add_f32_e32 v61, v31, v27
	v_fmac_f32_e32 v21, 0xbee1c552, v20
	v_sub_f32_e32 v31, v57, v58
	v_sub_f32_e32 v25, v7, v62
	;; [unrolled: 1-line block ×3, first 2 shown]
	v_add_f32_e32 v20, v23, v60
	v_add_f32_e32 v23, v62, v7
	v_add_f32_e32 v7, v58, v57
	v_add_f32_e32 v57, v38, v43
	v_sub_f32_e32 v38, v38, v43
	v_add_f32_e32 v43, v39, v41
	v_sub_f32_e32 v35, v35, v40
	v_add_f32_e32 v40, v32, v36
	;; [unrolled: 2-line block ×5, first 2 shown]
	v_sub_f32_e32 v58, v42, v56
	v_sub_f32_e32 v56, v56, v40
	;; [unrolled: 1-line block ×3, first 2 shown]
	v_add_f32_e32 v36, v40, v36
	v_add_f32_e32 v27, v21, v61
	v_sub_f32_e32 v21, v61, v21
	v_sub_f32_e32 v59, v43, v57
	v_sub_f32_e32 v57, v57, v41
	v_sub_f32_e32 v43, v41, v43
	v_add_f32_e32 v60, v32, v35
	v_add_f32_e32 v61, v34, v39
	v_sub_f32_e32 v62, v32, v35
	v_sub_f32_e32 v63, v34, v39
	;; [unrolled: 1-line block ×4, first 2 shown]
	v_add_f32_e32 v37, v41, v37
	v_add_f32_e32 v40, v0, v36
	v_mul_f32_e32 v0, 0x3f4a47b2, v56
	v_mul_f32_e32 v56, 0x3d64c772, v42
	v_sub_f32_e32 v32, v33, v32
	v_sub_f32_e32 v34, v38, v34
	v_add_f32_e32 v33, v60, v33
	v_add_f32_e32 v38, v61, v38
	;; [unrolled: 1-line block ×3, first 2 shown]
	v_mul_f32_e32 v1, 0x3f4a47b2, v57
	v_mul_f32_e32 v57, 0x3d64c772, v43
	;; [unrolled: 1-line block ×6, first 2 shown]
	v_fmamk_f32 v36, v36, 0xbf955555, v40
	v_fma_f32 v56, 0x3f3bfb3b, v58, -v56
	v_fmamk_f32 v37, v37, 0xbf955555, v41
	v_fmamk_f32 v42, v42, 0x3d64c772, v0
	;; [unrolled: 1-line block ×3, first 2 shown]
	v_fma_f32 v57, 0x3f3bfb3b, v59, -v57
	v_fma_f32 v0, 0xbf3bfb3b, v58, -v0
	;; [unrolled: 1-line block ×3, first 2 shown]
	v_fmamk_f32 v58, v32, 0xbeae86e6, v60
	v_fmamk_f32 v59, v34, 0xbeae86e6, v61
	v_fma_f32 v35, 0xbf5ff5aa, v35, -v60
	v_fmac_f32_e32 v62, 0x3eae86e6, v32
	v_fmac_f32_e32 v63, 0x3eae86e6, v34
	v_add_f32_e32 v32, v56, v36
	v_add_f32_e32 v56, v44, v54
	v_sub_f32_e32 v44, v44, v54
	v_add_f32_e32 v54, v45, v52
	v_fma_f32 v60, 0xbf5ff5aa, v39, -v61
	v_add_f32_e32 v61, v42, v36
	v_add_f32_e32 v64, v43, v37
	;; [unrolled: 1-line block ×5, first 2 shown]
	v_fmac_f32_e32 v58, 0xbee1c552, v33
	v_fmac_f32_e32 v59, 0xbee1c552, v38
	;; [unrolled: 1-line block ×5, first 2 shown]
	v_add_f32_e32 v57, v46, v55
	v_sub_f32_e32 v46, v46, v55
	v_add_f32_e32 v55, v47, v53
	v_sub_f32_e32 v45, v45, v52
	v_sub_f32_e32 v47, v47, v53
	v_add_f32_e32 v52, v48, v50
	v_add_f32_e32 v53, v49, v51
	v_sub_f32_e32 v48, v50, v48
	v_sub_f32_e32 v49, v51, v49
	v_add_f32_e32 v50, v54, v56
	v_fmac_f32_e32 v60, 0xbee1c552, v38
	v_add_f32_e32 v42, v59, v61
	v_sub_f32_e32 v43, v64, v58
	v_add_f32_e32 v36, v63, v0
	v_sub_f32_e32 v37, v1, v62
	;; [unrolled: 2-line block ×3, first 2 shown]
	v_sub_f32_e32 v34, v0, v63
	v_add_f32_e32 v35, v62, v1
	v_sub_f32_e32 v0, v61, v59
	v_add_f32_e32 v1, v58, v64
	v_sub_f32_e32 v58, v54, v56
	v_sub_f32_e32 v56, v56, v52
	v_sub_f32_e32 v54, v52, v54
	v_add_f32_e32 v61, v49, v47
	v_sub_f32_e32 v63, v49, v47
	v_add_f32_e32 v50, v52, v50
	v_sub_f32_e32 v38, v32, v60
	v_add_f32_e32 v32, v60, v32
	v_add_f32_e32 v60, v48, v45
	v_sub_f32_e32 v62, v48, v45
	v_sub_f32_e32 v49, v46, v49
	v_sub_f32_e32 v45, v45, v44
	v_sub_f32_e32 v47, v47, v46
	v_add_f32_e32 v46, v61, v46
	v_add_f32_e32 v52, v2, v50
	v_mul_f32_e32 v2, 0x3f4a47b2, v56
	v_mul_f32_e32 v56, 0x3d64c772, v54
	;; [unrolled: 1-line block ×3, first 2 shown]
	v_sub_f32_e32 v48, v44, v48
	v_add_f32_e32 v44, v60, v44
	v_mul_f32_e32 v60, 0x3f08b237, v62
	v_mul_f32_e32 v62, 0x3f5ff5aa, v45
	;; [unrolled: 1-line block ×3, first 2 shown]
	v_fmamk_f32 v50, v50, 0xbf955555, v52
	v_fma_f32 v56, 0x3f3bfb3b, v58, -v56
	v_fma_f32 v47, 0xbf5ff5aa, v47, -v61
	v_fmamk_f32 v54, v54, 0x3d64c772, v2
	v_fma_f32 v2, 0xbf3bfb3b, v58, -v2
	v_fmamk_f32 v58, v48, 0xbeae86e6, v60
	v_fma_f32 v45, 0xbf5ff5aa, v45, -v60
	v_fmac_f32_e32 v62, 0x3eae86e6, v48
	v_add_f32_e32 v56, v56, v50
	v_fmac_f32_e32 v47, 0xbee1c552, v46
	v_add_f32_e32 v60, v54, v50
	v_add_f32_e32 v2, v2, v50
	v_fmac_f32_e32 v58, 0xbee1c552, v44
	v_fmac_f32_e32 v45, 0xbee1c552, v44
	;; [unrolled: 1-line block ×3, first 2 shown]
	v_sub_f32_e32 v50, v56, v47
	v_add_f32_e32 v44, v47, v56
	buffer_load_dword v56, off, s[20:23], 0 offset:312 ; 4-byte Folded Reload
	s_waitcnt vmcnt(0)
	ds_write2_b64 v56, v[16:17], v[18:19] offset1:28
	ds_write2_b64 v56, v[12:13], v[14:15] offset0:56 offset1:84
	ds_write2_b64 v56, v[8:9], v[10:11] offset0:112 offset1:140
	ds_write_b64 v56, v[4:5] offset:1344
	buffer_load_dword v4, off, s[20:23], 0 offset:328 ; 4-byte Folded Reload
	s_waitcnt vmcnt(0)
	ds_write2_b64 v4, v[28:29], v[30:31] offset1:28
	ds_write2_b64 v4, v[24:25], v[26:27] offset0:56 offset1:84
	ds_write2_b64 v4, v[20:21], v[22:23] offset0:112 offset1:140
	ds_write_b64 v4, v[6:7] offset:1344
	;; [unrolled: 6-line block ×3, first 2 shown]
	buffer_load_dword v0, off, s[20:23], 0 offset:316 ; 4-byte Folded Reload
	v_add_f32_e32 v51, v55, v57
	v_sub_f32_e32 v59, v55, v57
	v_sub_f32_e32 v57, v57, v53
	v_sub_f32_e32 v55, v53, v55
	v_fmac_f32_e32 v63, 0x3eae86e6, v49
	v_add_f32_e32 v51, v53, v51
	v_fmac_f32_e32 v63, 0xbee1c552, v46
	v_add_f32_e32 v53, v3, v51
	v_mul_f32_e32 v3, 0x3f4a47b2, v57
	v_mul_f32_e32 v57, 0x3d64c772, v55
	v_add_f32_e32 v48, v63, v2
	v_fmamk_f32 v51, v51, 0xbf955555, v53
	v_fmamk_f32 v55, v55, 0x3d64c772, v3
	v_fma_f32 v57, 0x3f3bfb3b, v59, -v57
	v_fma_f32 v3, 0xbf3bfb3b, v59, -v3
	v_fmamk_f32 v59, v49, 0xbeae86e6, v61
	v_add_f32_e32 v61, v55, v51
	v_add_f32_e32 v57, v57, v51
	;; [unrolled: 1-line block ×3, first 2 shown]
	v_fmac_f32_e32 v59, 0xbee1c552, v46
	v_sub_f32_e32 v46, v2, v63
	v_sub_f32_e32 v55, v61, v58
	v_add_f32_e32 v51, v45, v57
	v_sub_f32_e32 v49, v3, v62
	v_add_f32_e32 v54, v59, v60
	v_sub_f32_e32 v45, v57, v45
	v_add_f32_e32 v47, v62, v3
	v_sub_f32_e32 v2, v60, v59
	v_add_f32_e32 v3, v58, v61
	s_waitcnt vmcnt(0)
	ds_write2_b64 v0, v[52:53], v[54:55] offset1:28
	ds_write2_b64 v0, v[48:49], v[50:51] offset0:56 offset1:84
	ds_write2_b64 v0, v[44:45], v[46:47] offset0:112 offset1:140
	ds_write_b64 v0, v[2:3] offset:1344
	s_waitcnt lgkmcnt(0)
	s_barrier
	buffer_gl0_inv
	ds_read2_b64 v[12:15], v69 offset1:196
	ds_read2_b64 v[0:3], v190 offset0:24 offset1:220
	ds_read2_b64 v[18:21], v191 offset0:56 offset1:252
	;; [unrolled: 1-line block ×6, first 2 shown]
	ds_read2_b64 v[38:41], v175 offset1:196
	ds_read2_b64 v[42:45], v179 offset0:40 offset1:236
	ds_read2_b64 v[46:49], v172 offset0:32 offset1:228
	;; [unrolled: 1-line block ×6, first 2 shown]
	s_waitcnt lgkmcnt(0)
	s_barrier
	buffer_gl0_inv
	v_mul_f32_e32 v62, v77, v3
	v_mul_f32_e32 v64, v79, v19
	;; [unrolled: 1-line block ×5, first 2 shown]
	v_fmac_f32_e32 v62, v76, v2
	v_mul_f32_e32 v2, v77, v2
	v_fmac_f32_e32 v66, v252, v32
	v_mul_f32_e32 v67, v255, v47
	v_fmac_f32_e32 v64, v78, v18
	v_fmac_f32_e32 v26, v78, v20
	v_fma_f32 v63, v76, v3, -v2
	v_mul_f32_e32 v2, v79, v18
	v_fmac_f32_e32 v67, v254, v46
	v_mul_f32_e32 v18, v77, v23
	v_mul_f32_e32 v27, v253, v35
	v_fmac_f32_e32 v16, v80, v24
	v_fma_f32 v65, v78, v19, -v2
	v_mul_f32_e32 v2, v253, v32
	v_fmac_f32_e32 v18, v76, v22
	v_fmac_f32_e32 v27, v252, v34
	v_mul_f32_e32 v3, v93, v42
	v_mul_f32_e32 v68, v85, v45
	v_fma_f32 v32, v252, v33, -v2
	v_mul_f32_e32 v33, v255, v46
	v_mul_f32_e32 v2, v77, v22
	;; [unrolled: 1-line block ×3, first 2 shown]
	v_fma_f32 v3, v92, v43, -v3
	v_fmac_f32_e32 v68, v84, v44
	v_fma_f32 v46, v254, v47, -v33
	v_mul_f32_e32 v33, v85, v44
	v_fma_f32 v19, v76, v23, -v2
	v_mul_f32_e32 v2, v79, v20
	v_mul_f32_e32 v79, v251, v59
	;; [unrolled: 1-line block ×3, first 2 shown]
	v_fma_f32 v70, v84, v45, -v33
	v_mul_f32_e32 v33, v87, v50
	v_fma_f32 v28, v78, v21, -v2
	v_mul_f32_e32 v2, v253, v34
	v_fmac_f32_e32 v79, v250, v58
	v_fmac_f32_e32 v23, v210, v36
	v_fma_f32 v72, v86, v51, -v33
	v_mul_f32_e32 v33, v217, v48
	v_fma_f32 v29, v252, v35, -v2
	v_mul_f32_e32 v2, v81, v24
	v_mul_f32_e32 v81, v229, v61
	v_sub_f32_e32 v35, v62, v66
	v_fma_f32 v74, v216, v49, -v33
	v_mul_f32_e32 v33, v97, v54
	v_fma_f32 v17, v80, v25, -v2
	v_mul_f32_e32 v2, v83, v38
	v_sub_f32_e32 v34, v63, v32
	v_fmac_f32_e32 v81, v228, v60
	v_fma_f32 v76, v96, v55, -v33
	v_mul_f32_e32 v33, v99, v52
	v_fma_f32 v24, v82, v39, -v2
	v_mul_f32_e32 v2, v211, v36
	v_sub_f32_e32 v36, v12, v64
	v_fmac_f32_e32 v22, v82, v38
	v_fma_f32 v78, v98, v53, -v33
	v_mul_f32_e32 v33, v251, v58
	v_fma_f32 v25, v210, v37, -v2
	v_sub_f32_e32 v37, v13, v65
	v_fma_f32 v12, v12, 2.0, -v36
	v_sub_f32_e32 v39, v18, v27
	v_fma_f32 v58, v250, v59, -v33
	v_mul_f32_e32 v59, v101, v57
	v_mul_f32_e32 v33, v101, v56
	v_fma_f32 v13, v13, 2.0, -v37
	v_sub_f32_e32 v38, v19, v29
	v_fma_f32 v18, v18, 2.0, -v39
	v_fmac_f32_e32 v59, v100, v56
	v_fma_f32 v56, v100, v57, -v33
	v_mul_f32_e32 v57, v103, v31
	v_fma_f32 v19, v19, 2.0, -v38
	v_mul_f32_e32 v20, v95, v41
	v_mul_f32_e32 v21, v95, v40
	;; [unrolled: 1-line block ×3, first 2 shown]
	v_fmac_f32_e32 v57, v102, v30
	v_mul_f32_e32 v30, v103, v30
	v_fmac_f32_e32 v20, v94, v40
	v_fma_f32 v21, v94, v41, -v21
	v_fmac_f32_e32 v2, v92, v42
	v_mul_f32_e32 v71, v87, v51
	v_fma_f32 v80, v102, v31, -v30
	v_mul_f32_e32 v30, v229, v60
	v_fma_f32 v31, v63, 2.0, -v34
	v_add_f32_e32 v34, v36, v34
	v_fmac_f32_e32 v71, v86, v50
	v_mul_f32_e32 v73, v217, v49
	v_fma_f32 v60, v228, v61, -v30
	v_fma_f32 v30, v62, 2.0, -v35
	v_sub_f32_e32 v31, v13, v31
	v_sub_f32_e32 v35, v37, v35
	v_fma_f32 v36, v36, 2.0, -v34
	v_mul_f32_e32 v77, v99, v53
	v_sub_f32_e32 v30, v12, v30
	v_fma_f32 v33, v13, 2.0, -v31
	v_sub_f32_e32 v13, v15, v28
	v_fma_f32 v37, v37, 2.0, -v35
	v_fmac_f32_e32 v73, v216, v48
	v_fma_f32 v32, v12, 2.0, -v30
	v_sub_f32_e32 v12, v14, v26
	v_fma_f32 v15, v15, 2.0, -v13
	v_sub_f32_e32 v39, v13, v39
	v_fmac_f32_e32 v77, v98, v52
	v_mul_f32_e32 v75, v97, v55
	v_fma_f32 v14, v14, 2.0, -v12
	v_sub_f32_e32 v27, v15, v19
	v_add_f32_e32 v38, v12, v38
	v_fma_f32 v41, v13, 2.0, -v39
	v_sub_f32_e32 v13, v5, v24
	v_sub_f32_e32 v26, v14, v18
	v_fma_f32 v29, v15, 2.0, -v27
	v_fma_f32 v40, v12, 2.0, -v38
	v_sub_f32_e32 v12, v4, v22
	v_sub_f32_e32 v15, v17, v25
	v_fma_f32 v28, v14, 2.0, -v26
	ds_write2_b64 v69, v[32:33], v[36:37] offset1:196
	ds_write2_b64 v184, v[30:31], v[34:35] offset0:8 offset1:204
	ds_write2_b64 v176, v[28:29], v[40:41] offset0:16 offset1:212
	;; [unrolled: 1-line block ×3, first 2 shown]
	buffer_load_dword v26, off, s[20:23], 0 offset:264 ; 4-byte Folded Reload
	v_sub_f32_e32 v14, v16, v23
	v_fma_f32 v4, v4, 2.0, -v12
	v_fma_f32 v5, v5, 2.0, -v13
	;; [unrolled: 1-line block ×3, first 2 shown]
	v_add_f32_e32 v42, v12, v15
	v_fma_f32 v16, v16, 2.0, -v14
	v_sub_f32_e32 v43, v13, v14
	v_fmac_f32_e32 v75, v96, v54
	v_sub_f32_e32 v23, v5, v17
	v_fma_f32 v44, v12, 2.0, -v42
	v_sub_f32_e32 v22, v4, v16
	v_fma_f32 v45, v13, 2.0, -v43
	;; [unrolled: 2-line block ×4, first 2 shown]
	v_sub_f32_e32 v4, v6, v20
	v_sub_f32_e32 v13, v3, v46
	v_fma_f32 v2, v2, 2.0, -v12
	v_fma_f32 v7, v7, 2.0, -v5
	v_sub_f32_e32 v51, v5, v12
	v_fma_f32 v6, v6, 2.0, -v4
	v_fma_f32 v3, v3, 2.0, -v13
	v_add_f32_e32 v50, v4, v13
	v_fma_f32 v53, v5, 2.0, -v51
	v_sub_f32_e32 v46, v6, v2
	v_sub_f32_e32 v47, v7, v3
	v_fma_f32 v52, v4, 2.0, -v50
	v_sub_f32_e32 v2, v8, v71
	v_sub_f32_e32 v3, v9, v72
	v_fma_f32 v48, v6, 2.0, -v46
	v_fma_f32 v49, v7, 2.0, -v47
	v_sub_f32_e32 v6, v68, v73
	v_sub_f32_e32 v7, v70, v74
	v_fma_f32 v4, v8, 2.0, -v2
	v_fma_f32 v5, v9, 2.0, -v3
	;; [unrolled: 1-line block ×4, first 2 shown]
	v_add_f32_e32 v18, v2, v7
	v_sub_f32_e32 v19, v3, v6
	v_sub_f32_e32 v6, v75, v79
	v_sub_f32_e32 v16, v4, v8
	v_sub_f32_e32 v17, v5, v9
	v_fma_f32 v54, v2, 2.0, -v18
	v_fma_f32 v55, v3, 2.0, -v19
	v_sub_f32_e32 v2, v10, v77
	v_fma_f32 v20, v4, 2.0, -v16
	v_fma_f32 v21, v5, 2.0, -v17
	v_sub_f32_e32 v3, v11, v78
	v_sub_f32_e32 v7, v76, v58
	v_fma_f32 v4, v10, 2.0, -v2
	v_fma_f32 v8, v75, 2.0, -v6
	v_sub_f32_e32 v58, v56, v60
	v_fma_f32 v5, v11, 2.0, -v3
	v_fma_f32 v9, v76, 2.0, -v7
	v_add_f32_e32 v10, v2, v7
	v_sub_f32_e32 v8, v4, v8
	v_sub_f32_e32 v11, v3, v6
	;; [unrolled: 1-line block ×4, first 2 shown]
	v_fma_f32 v14, v2, 2.0, -v10
	v_fma_f32 v12, v4, 2.0, -v8
	;; [unrolled: 1-line block ×3, first 2 shown]
	v_sub_f32_e32 v7, v1, v80
	v_fma_f32 v13, v5, 2.0, -v9
	v_sub_f32_e32 v57, v59, v81
	v_fma_f32 v2, v0, 2.0, -v6
	v_fma_f32 v3, v1, 2.0, -v7
	;; [unrolled: 1-line block ×4, first 2 shown]
	v_sub_f32_e32 v1, v3, v1
	v_sub_f32_e32 v0, v2, v0
	v_fma_f32 v5, v3, 2.0, -v1
	v_fma_f32 v4, v2, 2.0, -v0
	v_add_f32_e32 v2, v6, v58
	v_sub_f32_e32 v3, v7, v57
	v_fma_f32 v6, v6, 2.0, -v2
	v_fma_f32 v7, v7, 2.0, -v3
	s_waitcnt vmcnt(0)
	ds_write2_b64 v26, v[24:25], v[44:45] offset0:32 offset1:228
	buffer_load_dword v24, off, s[20:23], 0 offset:268 ; 4-byte Folded Reload
	s_waitcnt vmcnt(0)
	ds_write2_b64 v24, v[22:23], v[42:43] offset0:40 offset1:236
	buffer_load_dword v22, off, s[20:23], 0 offset:272 ; 4-byte Folded Reload
	;; [unrolled: 3-line block ×4, first 2 shown]
	s_waitcnt vmcnt(0)
	ds_write2_b64 v22, v[20:21], v[54:55] offset1:196
	buffer_load_dword v20, off, s[20:23], 0 offset:292 ; 4-byte Folded Reload
	s_waitcnt vmcnt(0)
	ds_write2_b64 v20, v[16:17], v[18:19] offset0:8 offset1:204
	buffer_load_dword v16, off, s[20:23], 0 offset:288 ; 4-byte Folded Reload
	s_waitcnt vmcnt(0)
	ds_write2_b64 v16, v[12:13], v[14:15] offset0:16 offset1:212
	;; [unrolled: 3-line block ×5, first 2 shown]
	s_waitcnt lgkmcnt(0)
	s_barrier
	buffer_gl0_inv
	ds_read2_b64 v[4:7], v69 offset1:196
	ds_read2_b64 v[8:11], v176 offset0:16 offset1:212
	ds_read2_b64 v[12:15], v177 offset0:32 offset1:228
	;; [unrolled: 1-line block ×3, first 2 shown]
	ds_read2_b64 v[21:24], v175 offset1:196
	ds_read2_b64 v[25:28], v178 offset0:16 offset1:212
	ds_read2_b64 v[29:32], v172 offset0:32 offset1:228
	;; [unrolled: 1-line block ×9, first 2 shown]
	s_waitcnt lgkmcnt(12)
	v_mul_f32_e32 v67, v117, v9
	s_waitcnt lgkmcnt(10)
	v_mul_f32_e32 v71, v121, v19
	s_waitcnt lgkmcnt(9)
	v_mul_f32_e32 v20, v115, v21
	s_waitcnt lgkmcnt(8)
	v_mul_f32_e32 v70, v105, v26
	v_fmac_f32_e32 v67, v116, v8
	v_mul_f32_e32 v8, v117, v8
	v_mul_f32_e32 v73, v123, v24
	v_fma_f32 v68, v114, v22, -v20
	v_mul_f32_e32 v20, v105, v25
	v_fmac_f32_e32 v70, v104, v25
	v_fma_f32 v8, v116, v9, -v8
	v_mul_f32_e32 v9, v119, v13
	v_fmac_f32_e32 v73, v122, v23
	v_fma_f32 v25, v104, v26, -v20
	s_waitcnt lgkmcnt(7)
	v_mul_f32_e32 v26, v107, v30
	v_mul_f32_e32 v20, v107, v29
	v_fmac_f32_e32 v9, v118, v12
	v_mul_f32_e32 v12, v119, v12
	s_waitcnt lgkmcnt(4)
	v_mul_f32_e32 v33, v143, v48
	v_fmac_f32_e32 v26, v106, v29
	v_fma_f32 v29, v106, v30, -v20
	v_mul_f32_e32 v20, v109, v11
	v_fma_f32 v12, v118, v13, -v12
	v_mul_f32_e32 v13, v113, v17
	v_fmac_f32_e32 v33, v142, v47
	s_waitcnt lgkmcnt(3)
	v_mul_f32_e32 v35, v137, v52
	v_fmac_f32_e32 v20, v108, v10
	v_mul_f32_e32 v10, v109, v10
	v_fmac_f32_e32 v13, v112, v16
	;; [unrolled: 2-line block ×3, first 2 shown]
	s_waitcnt lgkmcnt(2)
	v_mul_f32_e32 v37, v139, v56
	v_fma_f32 v30, v108, v11, -v10
	v_mul_f32_e32 v10, v111, v14
	v_fma_f32 v16, v112, v17, -v16
	v_mul_f32_e32 v17, v115, v22
	v_fmac_f32_e32 v71, v120, v18
	v_fmac_f32_e32 v37, v138, v55
	v_fma_f32 v22, v110, v15, -v10
	v_mul_f32_e32 v10, v121, v18
	v_fmac_f32_e32 v17, v114, v21
	v_mul_f32_e32 v21, v111, v15
	v_add_f32_e32 v11, v8, v29
	v_add_f32_e32 v15, v9, v70
	v_fma_f32 v72, v120, v19, -v10
	v_mul_f32_e32 v10, v123, v23
	v_add_f32_e32 v18, v12, v25
	v_fmac_f32_e32 v21, v110, v14
	s_waitcnt lgkmcnt(1)
	v_mul_f32_e32 v40, v133, v60
	v_sub_f32_e32 v14, v67, v26
	v_fma_f32 v23, v122, v24, -v10
	v_mul_f32_e32 v24, v89, v28
	v_mul_f32_e32 v10, v89, v27
	v_sub_f32_e32 v9, v9, v70
	v_sub_f32_e32 v12, v12, v25
	v_add_f32_e32 v19, v13, v17
	v_fmac_f32_e32 v24, v88, v27
	v_fma_f32 v27, v88, v28, -v10
	v_mul_f32_e32 v28, v91, v32
	v_mul_f32_e32 v10, v91, v31
	v_add_f32_e32 v25, v16, v68
	v_sub_f32_e32 v13, v17, v13
	v_sub_f32_e32 v16, v68, v16
	v_fmac_f32_e32 v28, v90, v31
	v_fma_f32 v31, v90, v32, -v10
	v_mul_f32_e32 v10, v141, v43
	v_mul_f32_e32 v32, v141, v44
	v_fmac_f32_e32 v40, v132, v59
	v_sub_f32_e32 v8, v8, v29
	s_waitcnt lgkmcnt(0)
	v_mul_f32_e32 v42, v135, v64
	v_fma_f32 v34, v140, v44, -v10
	v_mul_f32_e32 v10, v143, v47
	v_fmac_f32_e32 v32, v140, v43
	v_mul_f32_e32 v44, v129, v46
	v_fmac_f32_e32 v42, v134, v63
	v_fma_f32 v38, v142, v48, -v10
	v_mul_f32_e32 v10, v137, v51
	v_fmac_f32_e32 v44, v128, v45
	v_mul_f32_e32 v48, v145, v54
	v_fma_f32 v36, v136, v52, -v10
	v_mul_f32_e32 v10, v139, v55
	v_fmac_f32_e32 v48, v144, v53
	v_mul_f32_e32 v52, v125, v62
	v_fma_f32 v39, v138, v56, -v10
	v_mul_f32_e32 v10, v133, v59
	v_sub_f32_e32 v56, v18, v11
	v_sub_f32_e32 v59, v13, v9
	v_fmac_f32_e32 v52, v124, v61
	v_fma_f32 v41, v132, v60, -v10
	v_mul_f32_e32 v10, v135, v63
	v_sub_f32_e32 v60, v16, v12
	v_fma_f32 v43, v134, v64, -v10
	v_mul_f32_e32 v10, v129, v45
	v_mul_f32_e32 v45, v131, v50
	v_fma_f32 v47, v128, v46, -v10
	v_mul_f32_e32 v10, v131, v49
	v_fmac_f32_e32 v45, v130, v49
	v_fma_f32 v46, v130, v50, -v10
	v_mul_f32_e32 v10, v145, v53
	v_mul_f32_e32 v50, v147, v58
	v_fma_f32 v49, v144, v54, -v10
	v_mul_f32_e32 v10, v147, v57
	v_fmac_f32_e32 v50, v146, v57
	v_add_f32_e32 v57, v13, v9
	v_sub_f32_e32 v13, v14, v13
	v_sub_f32_e32 v9, v9, v14
	v_fma_f32 v51, v146, v58, -v10
	v_mul_f32_e32 v10, v125, v61
	v_add_f32_e32 v58, v16, v12
	v_sub_f32_e32 v16, v8, v16
	v_sub_f32_e32 v12, v12, v8
	v_add_f32_e32 v14, v57, v14
	v_fma_f32 v53, v124, v62, -v10
	v_mul_f32_e32 v10, v127, v65
	v_add_f32_e32 v8, v58, v8
	v_mul_f32_e32 v57, 0x3f08b237, v59
	v_mul_f32_e32 v58, 0x3f08b237, v60
	;; [unrolled: 1-line block ×3, first 2 shown]
	v_fma_f32 v55, v126, v66, -v10
	v_add_f32_e32 v10, v67, v26
	v_add_f32_e32 v26, v18, v11
	v_sub_f32_e32 v11, v11, v25
	v_sub_f32_e32 v18, v25, v18
	v_mul_f32_e32 v60, 0x3f5ff5aa, v12
	v_add_f32_e32 v17, v15, v10
	v_sub_f32_e32 v29, v15, v10
	v_sub_f32_e32 v10, v10, v19
	;; [unrolled: 1-line block ×3, first 2 shown]
	v_mul_f32_e32 v11, 0x3f4a47b2, v11
	v_add_f32_e32 v17, v19, v17
	v_add_f32_e32 v19, v25, v26
	v_mul_f32_e32 v10, 0x3f4a47b2, v10
	v_mul_f32_e32 v25, 0x3d64c772, v15
	;; [unrolled: 1-line block ×3, first 2 shown]
	v_add_f32_e32 v4, v4, v17
	v_add_f32_e32 v5, v5, v19
	v_fmamk_f32 v15, v15, 0x3d64c772, v10
	v_fmamk_f32 v18, v18, 0x3d64c772, v11
	v_fma_f32 v25, 0x3f3bfb3b, v29, -v25
	v_fmamk_f32 v17, v17, 0xbf955555, v4
	v_fmamk_f32 v19, v19, 0xbf955555, v5
	v_fma_f32 v26, 0x3f3bfb3b, v56, -v26
	v_fma_f32 v10, 0xbf3bfb3b, v29, -v10
	v_fmamk_f32 v29, v13, 0xbeae86e6, v57
	v_fma_f32 v9, 0xbf5ff5aa, v9, -v57
	v_fma_f32 v12, 0xbf5ff5aa, v12, -v58
	v_fma_f32 v11, 0xbf3bfb3b, v56, -v11
	v_fmamk_f32 v56, v16, 0xbeae86e6, v58
	v_fmac_f32_e32 v59, 0x3eae86e6, v13
	v_add_f32_e32 v58, v18, v19
	v_add_f32_e32 v13, v25, v17
	;; [unrolled: 1-line block ×3, first 2 shown]
	v_fmac_f32_e32 v29, 0xbee1c552, v14
	v_fmac_f32_e32 v9, 0xbee1c552, v14
	;; [unrolled: 1-line block ×4, first 2 shown]
	v_add_f32_e32 v57, v15, v17
	v_add_f32_e32 v11, v11, v19
	v_fmac_f32_e32 v56, 0xbee1c552, v8
	v_fmac_f32_e32 v59, 0xbee1c552, v14
	v_sub_f32_e32 v19, v58, v29
	v_sub_f32_e32 v14, v13, v12
	v_add_f32_e32 v15, v9, v25
	v_add_f32_e32 v12, v12, v13
	v_sub_f32_e32 v13, v25, v9
	v_add_f32_e32 v9, v29, v58
	v_add_f32_e32 v25, v20, v28
	;; [unrolled: 1-line block ×3, first 2 shown]
	v_sub_f32_e32 v20, v20, v28
	v_sub_f32_e32 v28, v30, v31
	v_add_f32_e32 v29, v21, v24
	v_add_f32_e32 v30, v22, v27
	;; [unrolled: 1-line block ×3, first 2 shown]
	v_fmac_f32_e32 v60, 0xbee1c552, v8
	v_add_f32_e32 v18, v56, v57
	v_sub_f32_e32 v8, v57, v56
	v_sub_f32_e32 v21, v21, v24
	v_sub_f32_e32 v22, v22, v27
	v_add_f32_e32 v24, v71, v73
	v_add_f32_e32 v27, v72, v23
	v_sub_f32_e32 v31, v73, v71
	v_sub_f32_e32 v23, v23, v72
	v_add_f32_e32 v56, v29, v25
	v_add_f32_e32 v57, v30, v26
	;; [unrolled: 1-line block ×3, first 2 shown]
	v_sub_f32_e32 v17, v11, v59
	v_sub_f32_e32 v10, v10, v60
	v_add_f32_e32 v11, v59, v11
	v_sub_f32_e32 v58, v29, v25
	v_sub_f32_e32 v59, v30, v26
	;; [unrolled: 1-line block ×6, first 2 shown]
	v_add_f32_e32 v30, v31, v21
	v_add_f32_e32 v61, v23, v22
	v_sub_f32_e32 v62, v31, v21
	v_sub_f32_e32 v63, v23, v22
	;; [unrolled: 1-line block ×4, first 2 shown]
	v_add_f32_e32 v24, v24, v56
	v_add_f32_e32 v27, v27, v57
	v_sub_f32_e32 v64, v20, v31
	v_sub_f32_e32 v23, v28, v23
	v_add_f32_e32 v20, v30, v20
	v_add_f32_e32 v28, v61, v28
	;; [unrolled: 1-line block ×4, first 2 shown]
	v_mul_f32_e32 v6, 0x3f4a47b2, v25
	v_mul_f32_e32 v7, 0x3f4a47b2, v26
	;; [unrolled: 1-line block ×8, first 2 shown]
	v_fmamk_f32 v24, v24, 0xbf955555, v30
	v_fmamk_f32 v27, v27, 0xbf955555, v31
	;; [unrolled: 1-line block ×4, first 2 shown]
	v_fma_f32 v25, 0x3f3bfb3b, v58, -v25
	v_fma_f32 v26, 0x3f3bfb3b, v59, -v26
	;; [unrolled: 1-line block ×4, first 2 shown]
	v_fmamk_f32 v58, v64, 0xbeae86e6, v56
	v_fmamk_f32 v59, v23, 0xbeae86e6, v57
	v_fma_f32 v21, 0xbf5ff5aa, v21, -v56
	v_fma_f32 v22, 0xbf5ff5aa, v22, -v57
	v_fmac_f32_e32 v61, 0x3eae86e6, v64
	v_fmac_f32_e32 v62, 0x3eae86e6, v23
	v_add_f32_e32 v56, v29, v24
	v_add_f32_e32 v57, v60, v27
	v_add_f32_e32 v23, v25, v24
	v_add_f32_e32 v60, v26, v27
	v_add_f32_e32 v6, v6, v24
	v_add_f32_e32 v7, v7, v27
	v_fmac_f32_e32 v58, 0xbee1c552, v20
	v_fmac_f32_e32 v59, 0xbee1c552, v28
	v_fmac_f32_e32 v21, 0xbee1c552, v20
	v_fmac_f32_e32 v22, 0xbee1c552, v28
	v_fmac_f32_e32 v61, 0xbee1c552, v20
	v_fmac_f32_e32 v62, 0xbee1c552, v28
	v_add_f32_e32 v28, v59, v56
	v_sub_f32_e32 v29, v57, v58
	v_sub_f32_e32 v24, v23, v22
	;; [unrolled: 1-line block ×3, first 2 shown]
	v_add_f32_e32 v26, v62, v6
	v_add_f32_e32 v25, v21, v60
	;; [unrolled: 1-line block ×3, first 2 shown]
	v_sub_f32_e32 v23, v60, v21
	v_sub_f32_e32 v20, v6, v62
	v_add_f32_e32 v21, v61, v7
	v_sub_f32_e32 v6, v56, v59
	v_add_f32_e32 v7, v58, v57
	v_add_f32_e32 v56, v32, v42
	;; [unrolled: 1-line block ×3, first 2 shown]
	v_sub_f32_e32 v32, v32, v42
	v_sub_f32_e32 v34, v34, v43
	v_add_f32_e32 v42, v33, v40
	v_add_f32_e32 v43, v38, v41
	v_sub_f32_e32 v33, v33, v40
	v_sub_f32_e32 v38, v38, v41
	v_add_f32_e32 v40, v35, v37
	v_add_f32_e32 v41, v36, v39
	;; [unrolled: 4-line block ×3, first 2 shown]
	v_sub_f32_e32 v58, v42, v56
	v_sub_f32_e32 v59, v43, v57
	;; [unrolled: 1-line block ×6, first 2 shown]
	v_add_f32_e32 v60, v35, v33
	v_add_f32_e32 v61, v36, v38
	v_sub_f32_e32 v62, v35, v33
	v_sub_f32_e32 v63, v36, v38
	;; [unrolled: 1-line block ×3, first 2 shown]
	v_add_f32_e32 v37, v40, v37
	v_add_f32_e32 v39, v41, v39
	v_sub_f32_e32 v35, v32, v35
	v_sub_f32_e32 v36, v34, v36
	;; [unrolled: 1-line block ×3, first 2 shown]
	v_add_f32_e32 v32, v60, v32
	v_add_f32_e32 v34, v61, v34
	;; [unrolled: 1-line block ×4, first 2 shown]
	v_mul_f32_e32 v40, 0x3f4a47b2, v56
	v_mul_f32_e32 v41, 0x3f4a47b2, v57
	;; [unrolled: 1-line block ×9, first 2 shown]
	v_fmamk_f32 v37, v37, 0xbf955555, v0
	v_fmamk_f32 v39, v39, 0xbf955555, v1
	;; [unrolled: 1-line block ×3, first 2 shown]
	v_fma_f32 v56, 0x3f3bfb3b, v58, -v56
	v_fma_f32 v57, 0x3f3bfb3b, v59, -v57
	;; [unrolled: 1-line block ×4, first 2 shown]
	v_fmac_f32_e32 v63, 0x3eae86e6, v36
	v_fmamk_f32 v43, v43, 0x3d64c772, v41
	v_fma_f32 v41, 0xbf3bfb3b, v59, -v41
	v_fmamk_f32 v58, v35, 0xbeae86e6, v60
	v_fmamk_f32 v59, v36, 0xbeae86e6, v61
	v_fmac_f32_e32 v54, v126, v65
	v_fma_f32 v60, 0xbf5ff5aa, v38, -v61
	v_fmac_f32_e32 v62, 0x3eae86e6, v35
	v_add_f32_e32 v35, v56, v37
	v_add_f32_e32 v56, v57, v39
	;; [unrolled: 1-line block ×3, first 2 shown]
	v_fmac_f32_e32 v33, 0xbee1c552, v32
	v_fmac_f32_e32 v63, 0xbee1c552, v34
	v_add_f32_e32 v61, v42, v37
	v_add_f32_e32 v64, v43, v39
	v_fmac_f32_e32 v58, 0xbee1c552, v32
	v_fmac_f32_e32 v59, 0xbee1c552, v34
	v_add_f32_e32 v65, v41, v39
	v_fmac_f32_e32 v60, 0xbee1c552, v34
	v_add_f32_e32 v40, v63, v57
	v_add_f32_e32 v39, v33, v56
	v_sub_f32_e32 v37, v56, v33
	v_sub_f32_e32 v34, v57, v63
	v_add_f32_e32 v56, v44, v54
	v_add_f32_e32 v57, v47, v55
	v_sub_f32_e32 v44, v44, v54
	v_sub_f32_e32 v47, v47, v55
	v_add_f32_e32 v54, v45, v52
	v_add_f32_e32 v55, v46, v53
	v_fmac_f32_e32 v62, 0xbee1c552, v32
	v_add_f32_e32 v42, v59, v61
	v_sub_f32_e32 v43, v64, v58
	ds_write_b64 v69, v[18:19] offset:6272
	ds_write_b64 v69, v[16:17] offset:12544
	;; [unrolled: 1-line block ×6, first 2 shown]
	ds_write2_b64 v69, v[4:5], v[30:31] offset1:196
	v_add_nc_u32_e32 v4, 0x1e00, v69
	v_sub_f32_e32 v45, v45, v52
	v_sub_f32_e32 v46, v46, v53
	v_add_f32_e32 v52, v48, v50
	v_add_f32_e32 v53, v49, v51
	v_sub_f32_e32 v48, v50, v48
	v_sub_f32_e32 v49, v51, v49
	v_add_f32_e32 v50, v54, v56
	v_add_f32_e32 v51, v55, v57
	v_sub_f32_e32 v41, v65, v62
	ds_write2_b64 v4, v[28:29], v[42:43] offset0:20 offset1:216
	v_add_nc_u32_e32 v4, 0x3600, v69
	v_sub_f32_e32 v38, v35, v60
	v_add_f32_e32 v36, v60, v35
	v_add_f32_e32 v35, v62, v65
	v_sub_f32_e32 v32, v61, v59
	v_add_f32_e32 v33, v58, v64
	v_sub_f32_e32 v58, v54, v56
	v_sub_f32_e32 v59, v55, v57
	;; [unrolled: 1-line block ×6, first 2 shown]
	v_add_f32_e32 v60, v48, v45
	v_add_f32_e32 v61, v49, v46
	v_sub_f32_e32 v62, v48, v45
	v_sub_f32_e32 v63, v49, v46
	v_add_f32_e32 v50, v52, v50
	v_add_f32_e32 v51, v53, v51
	v_sub_f32_e32 v45, v45, v44
	v_sub_f32_e32 v46, v46, v47
	ds_write2_b64 v4, v[26:27], v[40:41] offset0:36 offset1:232
	v_add_nc_u32_e32 v4, 0x4e00, v69
	v_sub_f32_e32 v48, v44, v48
	v_sub_f32_e32 v49, v47, v49
	v_add_f32_e32 v44, v60, v44
	v_add_f32_e32 v47, v61, v47
	;; [unrolled: 1-line block ×4, first 2 shown]
	v_mul_f32_e32 v52, 0x3f4a47b2, v56
	v_mul_f32_e32 v53, 0x3f4a47b2, v57
	v_mul_f32_e32 v56, 0x3d64c772, v54
	v_mul_f32_e32 v57, 0x3d64c772, v55
	v_mul_f32_e32 v60, 0x3f08b237, v62
	v_mul_f32_e32 v61, 0x3f08b237, v63
	v_mul_f32_e32 v62, 0x3f5ff5aa, v45
	v_mul_f32_e32 v63, 0x3f5ff5aa, v46
	ds_write2_b64 v4, v[24:25], v[38:39] offset0:52 offset1:248
	v_add_nc_u32_e32 v4, 0x6800, v69
	v_fmamk_f32 v50, v50, 0xbf955555, v2
	v_fmamk_f32 v51, v51, 0xbf955555, v3
	;; [unrolled: 1-line block ×4, first 2 shown]
	v_fma_f32 v56, 0x3f3bfb3b, v58, -v56
	v_fma_f32 v57, 0x3f3bfb3b, v59, -v57
	;; [unrolled: 1-line block ×4, first 2 shown]
	v_fmamk_f32 v58, v48, 0xbeae86e6, v60
	v_fmamk_f32 v59, v49, 0xbeae86e6, v61
	v_fmac_f32_e32 v62, 0x3eae86e6, v48
	v_fmac_f32_e32 v63, 0x3eae86e6, v49
	v_fma_f32 v60, 0xbf5ff5aa, v45, -v60
	v_fma_f32 v61, 0xbf5ff5aa, v46, -v61
	ds_write2_b64 v4, v[22:23], v[36:37] offset0:4 offset1:200
	v_add_nc_u32_e32 v4, 0x8000, v69
	v_add_f32_e32 v54, v54, v50
	v_add_f32_e32 v55, v55, v51
	v_fmac_f32_e32 v58, 0xbee1c552, v44
	v_fmac_f32_e32 v59, 0xbee1c552, v47
	v_add_f32_e32 v52, v52, v50
	v_add_f32_e32 v53, v53, v51
	v_fmac_f32_e32 v62, 0xbee1c552, v44
	v_fmac_f32_e32 v63, 0xbee1c552, v47
	;; [unrolled: 4-line block ×3, first 2 shown]
	ds_write2_b64 v4, v[20:21], v[34:35] offset0:20 offset1:216
	v_add_nc_u32_e32 v4, 0x9800, v69
	v_add_f32_e32 v46, v59, v54
	v_sub_f32_e32 v47, v55, v58
	v_add_f32_e32 v44, v63, v52
	v_sub_f32_e32 v45, v53, v62
	v_sub_f32_e32 v50, v48, v61
	v_add_f32_e32 v51, v60, v49
	v_add_f32_e32 v48, v61, v48
	v_sub_f32_e32 v49, v49, v60
	v_sub_f32_e32 v52, v52, v63
	v_add_f32_e32 v53, v62, v53
	v_sub_f32_e32 v54, v54, v59
	v_add_f32_e32 v55, v58, v55
	ds_write2_b64 v4, v[6:7], v[32:33] offset0:36 offset1:232
	ds_write2_b64 v184, v[0:1], v[2:3] offset0:8 offset1:204
	ds_write_b64 v69, v[46:47] offset:10976
	ds_write_b64 v69, v[44:45] offset:17248
	;; [unrolled: 1-line block ×6, first 2 shown]
	s_waitcnt lgkmcnt(0)
	s_barrier
	buffer_gl0_inv
	ds_read2_b64 v[14:17], v69 offset1:196
	s_clause 0x2
	buffer_load_dword v1, off, s[20:23], 0 offset:320
	buffer_load_dword v2, off, s[20:23], 0 offset:324
	;; [unrolled: 1-line block ×3, first 2 shown]
	s_waitcnt vmcnt(1) lgkmcnt(0)
	v_mul_f32_e32 v0, v2, v15
	v_mov_b32_e32 v3, v2
	v_mov_b32_e32 v2, v1
	v_fmac_f32_e32 v0, v1, v14
	v_cvt_f64_f32_e32 v[0:1], v0
	v_mul_f64 v[0:1], v[0:1], s[2:3]
	v_cvt_f32_f64_e32 v0, v[0:1]
	v_mul_f32_e32 v1, v3, v14
	v_fma_f32 v1, v2, v15, -v1
	v_cvt_f64_f32_e32 v[1:2], v1
	v_mul_f64 v[1:2], v[1:2], s[2:3]
	v_cvt_f32_f64_e32 v1, v[1:2]
	s_waitcnt vmcnt(0)
	v_mad_u64_u32 v[2:3], null, s0, v4, 0
	s_mul_i32 s0, s0, 0xffff7320
	v_mad_u64_u32 v[3:4], null, s1, v4, v[3:4]
	s_clause 0x1
	buffer_load_dword v4, off, s[20:23], 0 offset:184
	buffer_load_dword v5, off, s[20:23], 0 offset:188
	ds_read2_b64 v[12:15], v176 offset0:16 offset1:212
	s_mul_i32 s1, s1, 0xffff7320
	s_add_i32 s1, s6, s1
	v_lshlrev_b64 v[2:3], 3, v[2:3]
	s_waitcnt vmcnt(0)
	v_lshlrev_b64 v[4:5], 3, v[4:5]
	v_add_co_u32 v4, vcc_lo, s12, v4
	v_add_co_ci_u32_e32 v5, vcc_lo, s13, v5, vcc_lo
	v_add_co_u32 v2, vcc_lo, v4, v2
	v_add_co_ci_u32_e32 v3, vcc_lo, v5, v3, vcc_lo
	global_store_dwordx2 v[2:3], v[0:1], off
	s_clause 0x1
	buffer_load_dword v4, off, s[20:23], 0 offset:304
	buffer_load_dword v5, off, s[20:23], 0 offset:308
	v_add_co_u32 v2, vcc_lo, v2, s5
	v_add_co_ci_u32_e32 v3, vcc_lo, s4, v3, vcc_lo
	s_waitcnt vmcnt(0) lgkmcnt(0)
	v_mul_f32_e32 v0, v5, v13
	v_fmac_f32_e32 v0, v4, v12
	v_cvt_f64_f32_e32 v[0:1], v0
	v_mul_f64 v[0:1], v[0:1], s[2:3]
	v_cvt_f32_f64_e32 v0, v[0:1]
	v_mul_f32_e32 v1, v5, v12
	v_fma_f32 v1, v4, v13, -v1
	ds_read2_b64 v[10:13], v177 offset0:32 offset1:228
	v_cvt_f64_f32_e32 v[4:5], v1
	v_mul_f64 v[4:5], v[4:5], s[2:3]
	v_cvt_f32_f64_e32 v1, v[4:5]
	global_store_dwordx2 v[2:3], v[0:1], off
	s_clause 0x1
	buffer_load_dword v4, off, s[20:23], 0 offset:208
	buffer_load_dword v5, off, s[20:23], 0 offset:212
	v_add_co_u32 v2, vcc_lo, v2, s5
	v_add_co_ci_u32_e32 v3, vcc_lo, s4, v3, vcc_lo
	v_add_co_u32 v6, vcc_lo, v2, s5
	v_add_co_ci_u32_e32 v7, vcc_lo, s4, v3, vcc_lo
	s_waitcnt vmcnt(0) lgkmcnt(0)
	v_mul_f32_e32 v0, v5, v11
	v_fmac_f32_e32 v0, v4, v10
	v_cvt_f64_f32_e32 v[0:1], v0
	v_mul_f64 v[0:1], v[0:1], s[2:3]
	v_cvt_f32_f64_e32 v0, v[0:1]
	v_mul_f32_e32 v1, v5, v10
	v_fma_f32 v1, v4, v11, -v1
	ds_read2_b64 v[8:11], v150 offset0:48 offset1:244
	v_cvt_f64_f32_e32 v[4:5], v1
	v_mul_f64 v[4:5], v[4:5], s[2:3]
	v_cvt_f32_f64_e32 v1, v[4:5]
	global_store_dwordx2 v[2:3], v[0:1], off
	s_clause 0x1
	buffer_load_dword v4, off, s[20:23], 0 offset:200
	buffer_load_dword v5, off, s[20:23], 0 offset:204
	s_waitcnt vmcnt(0) lgkmcnt(0)
	v_mul_f32_e32 v0, v5, v9
	v_fmac_f32_e32 v0, v4, v8
	v_cvt_f64_f32_e32 v[0:1], v0
	v_mul_f64 v[0:1], v[0:1], s[2:3]
	v_cvt_f32_f64_e32 v0, v[0:1]
	v_mul_f32_e32 v1, v5, v8
	v_fma_f32 v1, v4, v9, -v1
	v_cvt_f64_f32_e32 v[4:5], v1
	v_mul_f64 v[4:5], v[4:5], s[2:3]
	v_cvt_f32_f64_e32 v1, v[4:5]
	ds_read2_b64 v[2:5], v175 offset1:196
	global_store_dwordx2 v[6:7], v[0:1], off
	s_clause 0x1
	buffer_load_dword v8, off, s[20:23], 0 offset:192
	buffer_load_dword v9, off, s[20:23], 0 offset:196
	v_add_co_u32 v6, vcc_lo, v6, s5
	v_add_co_ci_u32_e32 v7, vcc_lo, s4, v7, vcc_lo
	s_waitcnt vmcnt(0) lgkmcnt(0)
	v_mul_f32_e32 v0, v9, v3
	v_fmac_f32_e32 v0, v8, v2
	v_cvt_f64_f32_e32 v[0:1], v0
	v_mul_f64 v[0:1], v[0:1], s[2:3]
	v_cvt_f32_f64_e32 v0, v[0:1]
	v_mul_f32_e32 v1, v9, v2
	v_fma_f32 v1, v8, v3, -v1
	v_cvt_f64_f32_e32 v[1:2], v1
	v_mul_f64 v[1:2], v[1:2], s[2:3]
	v_cvt_f32_f64_e32 v1, v[1:2]
	global_store_dwordx2 v[6:7], v[0:1], off
	ds_read2_b64 v[0:3], v178 offset0:16 offset1:212
	s_clause 0x1
	buffer_load_dword v18, off, s[20:23], 0 offset:176
	buffer_load_dword v19, off, s[20:23], 0 offset:180
	s_waitcnt vmcnt(0) lgkmcnt(0)
	v_mul_f32_e32 v8, v19, v1
	v_fmac_f32_e32 v8, v18, v0
	v_mul_f32_e32 v0, v19, v0
	v_cvt_f64_f32_e32 v[8:9], v8
	v_fma_f32 v0, v18, v1, -v0
	v_cvt_f64_f32_e32 v[0:1], v0
	v_mul_f64 v[8:9], v[8:9], s[2:3]
	v_mul_f64 v[0:1], v[0:1], s[2:3]
	v_cvt_f32_f64_e32 v8, v[8:9]
	v_cvt_f32_f64_e32 v9, v[0:1]
	v_add_co_u32 v0, vcc_lo, v6, s5
	v_add_co_ci_u32_e32 v1, vcc_lo, s4, v7, vcc_lo
	global_store_dwordx2 v[0:1], v[8:9], off
	ds_read2_b64 v[6:9], v172 offset0:32 offset1:228
	s_clause 0x1
	buffer_load_dword v19, off, s[20:23], 0 offset:160
	buffer_load_dword v20, off, s[20:23], 0 offset:164
	v_add_co_u32 v0, vcc_lo, v0, s5
	v_add_co_ci_u32_e32 v1, vcc_lo, s4, v1, vcc_lo
	s_waitcnt vmcnt(0) lgkmcnt(0)
	v_mul_f32_e32 v18, v20, v7
	v_mov_b32_e32 v21, v20
	v_mov_b32_e32 v20, v19
	v_fmac_f32_e32 v18, v19, v6
	v_mul_f32_e32 v6, v21, v6
	v_cvt_f64_f32_e32 v[18:19], v18
	v_fma_f32 v6, v20, v7, -v6
	v_cvt_f64_f32_e32 v[6:7], v6
	v_mul_f64 v[18:19], v[18:19], s[2:3]
	v_mul_f64 v[6:7], v[6:7], s[2:3]
	v_cvt_f32_f64_e32 v18, v[18:19]
	v_cvt_f32_f64_e32 v19, v[6:7]
	global_store_dwordx2 v[0:1], v[18:19], off
	s_clause 0x1
	buffer_load_dword v18, off, s[20:23], 0 offset:168
	buffer_load_dword v19, off, s[20:23], 0 offset:172
	v_add_co_u32 v0, vcc_lo, v0, s0
	v_add_co_ci_u32_e32 v1, vcc_lo, s1, v1, vcc_lo
	s_waitcnt vmcnt(0)
	v_mul_f32_e32 v6, v19, v17
	v_fmac_f32_e32 v6, v18, v16
	v_cvt_f64_f32_e32 v[6:7], v6
	v_mul_f64 v[6:7], v[6:7], s[2:3]
	v_cvt_f32_f64_e32 v6, v[6:7]
	v_mul_f32_e32 v7, v19, v16
	v_fma_f32 v7, v18, v17, -v7
	v_cvt_f64_f32_e32 v[16:17], v7
	v_mul_f64 v[16:17], v[16:17], s[2:3]
	v_cvt_f32_f64_e32 v7, v[16:17]
	global_store_dwordx2 v[0:1], v[6:7], off
	s_clause 0x1
	buffer_load_dword v16, off, s[20:23], 0 offset:152
	buffer_load_dword v17, off, s[20:23], 0 offset:156
	v_add_co_u32 v0, vcc_lo, v0, s5
	v_add_co_ci_u32_e32 v1, vcc_lo, s4, v1, vcc_lo
	s_waitcnt vmcnt(0)
	v_mul_f32_e32 v6, v17, v15
	v_fmac_f32_e32 v6, v16, v14
	v_cvt_f64_f32_e32 v[6:7], v6
	v_mul_f64 v[6:7], v[6:7], s[2:3]
	v_cvt_f32_f64_e32 v6, v[6:7]
	v_mul_f32_e32 v7, v17, v14
	v_fma_f32 v7, v16, v15, -v7
	v_cvt_f64_f32_e32 v[14:15], v7
	v_mul_f64 v[14:15], v[14:15], s[2:3]
	;; [unrolled: 17-line block ×4, first 2 shown]
	v_cvt_f32_f64_e32 v7, v[10:11]
	global_store_dwordx2 v[0:1], v[6:7], off
	s_clause 0x1
	buffer_load_dword v10, off, s[20:23], 0 offset:80
	buffer_load_dword v11, off, s[20:23], 0 offset:84
	v_add_co_u32 v0, vcc_lo, v0, s5
	v_add_co_ci_u32_e32 v1, vcc_lo, s4, v1, vcc_lo
	s_waitcnt vmcnt(0)
	v_mul_f32_e32 v6, v11, v5
	v_fmac_f32_e32 v6, v10, v4
	v_mul_f32_e32 v4, v11, v4
	v_cvt_f64_f32_e32 v[6:7], v6
	v_fma_f32 v4, v10, v5, -v4
	v_cvt_f64_f32_e32 v[4:5], v4
	v_mul_f64 v[6:7], v[6:7], s[2:3]
	v_mul_f64 v[4:5], v[4:5], s[2:3]
	v_cvt_f32_f64_e32 v6, v[6:7]
	v_cvt_f32_f64_e32 v7, v[4:5]
	global_store_dwordx2 v[0:1], v[6:7], off
	s_clause 0x1
	buffer_load_dword v6, off, s[20:23], 0 offset:104
	buffer_load_dword v7, off, s[20:23], 0 offset:108
	v_add_co_u32 v0, vcc_lo, v0, s5
	v_add_co_ci_u32_e32 v1, vcc_lo, s4, v1, vcc_lo
	s_waitcnt vmcnt(0)
	v_mul_f32_e32 v4, v7, v3
	v_fmac_f32_e32 v4, v6, v2
	v_mul_f32_e32 v2, v7, v2
	v_cvt_f64_f32_e32 v[4:5], v4
	v_fma_f32 v2, v6, v3, -v2
	v_cvt_f64_f32_e32 v[2:3], v2
	v_mul_f64 v[4:5], v[4:5], s[2:3]
	v_mul_f64 v[2:3], v[2:3], s[2:3]
	v_cvt_f32_f64_e32 v4, v[4:5]
	v_cvt_f32_f64_e32 v5, v[2:3]
	global_store_dwordx2 v[0:1], v[4:5], off
	s_clause 0x1
	buffer_load_dword v4, off, s[20:23], 0 offset:96
	buffer_load_dword v5, off, s[20:23], 0 offset:100
	s_waitcnt vmcnt(0)
	v_mul_f32_e32 v2, v5, v9
	v_fmac_f32_e32 v2, v4, v8
	v_cvt_f64_f32_e32 v[2:3], v2
	v_mul_f64 v[2:3], v[2:3], s[2:3]
	v_cvt_f32_f64_e32 v2, v[2:3]
	v_mul_f32_e32 v3, v5, v8
	v_fma_f32 v3, v4, v9, -v3
	v_cvt_f64_f32_e32 v[3:4], v3
	v_mul_f64 v[3:4], v[3:4], s[2:3]
	v_cvt_f32_f64_e32 v3, v[3:4]
	v_add_co_u32 v4, vcc_lo, v0, s5
	v_add_co_ci_u32_e32 v5, vcc_lo, s4, v1, vcc_lo
	global_store_dwordx2 v[4:5], v[2:3], off
	ds_read2_b64 v[0:3], v184 offset0:8 offset1:204
	s_clause 0x1
	buffer_load_dword v8, off, s[20:23], 0 offset:48
	buffer_load_dword v9, off, s[20:23], 0 offset:52
	s_waitcnt vmcnt(0) lgkmcnt(0)
	v_mul_f32_e32 v6, v9, v1
	v_fmac_f32_e32 v6, v8, v0
	v_mul_f32_e32 v0, v9, v0
	v_cvt_f64_f32_e32 v[6:7], v6
	v_fma_f32 v0, v8, v1, -v0
	v_cvt_f64_f32_e32 v[0:1], v0
	v_mul_f64 v[6:7], v[6:7], s[2:3]
	v_mul_f64 v[0:1], v[0:1], s[2:3]
	v_cvt_f32_f64_e32 v6, v[6:7]
	v_cvt_f32_f64_e32 v7, v[0:1]
	v_add_co_u32 v0, vcc_lo, v4, s0
	v_add_co_ci_u32_e32 v1, vcc_lo, s1, v5, vcc_lo
	global_store_dwordx2 v[0:1], v[6:7], off
	ds_read2_b64 v[4:7], v190 offset0:24 offset1:220
	s_clause 0x1
	buffer_load_dword v9, off, s[20:23], 0 offset:120
	buffer_load_dword v10, off, s[20:23], 0 offset:124
	v_add_co_u32 v0, vcc_lo, v0, s5
	v_add_co_ci_u32_e32 v1, vcc_lo, s4, v1, vcc_lo
	s_waitcnt vmcnt(0) lgkmcnt(0)
	v_mul_f32_e32 v8, v10, v5
	v_mov_b32_e32 v11, v10
	v_mov_b32_e32 v10, v9
	v_fmac_f32_e32 v8, v9, v4
	v_mul_f32_e32 v4, v11, v4
	v_cvt_f64_f32_e32 v[8:9], v8
	v_fma_f32 v4, v10, v5, -v4
	v_cvt_f64_f32_e32 v[4:5], v4
	v_mul_f64 v[8:9], v[8:9], s[2:3]
	v_mul_f64 v[4:5], v[4:5], s[2:3]
	v_cvt_f32_f64_e32 v8, v[8:9]
	v_cvt_f32_f64_e32 v9, v[4:5]
	global_store_dwordx2 v[0:1], v[8:9], off
	ds_read2_b64 v[8:11], v179 offset0:40 offset1:236
	s_clause 0x1
	buffer_load_dword v12, off, s[20:23], 0 offset:128
	buffer_load_dword v13, off, s[20:23], 0 offset:132
	v_add_co_u32 v0, vcc_lo, v0, s5
	v_add_co_ci_u32_e32 v1, vcc_lo, s4, v1, vcc_lo
	s_waitcnt vmcnt(0) lgkmcnt(0)
	v_mul_f32_e32 v4, v13, v9
	v_fmac_f32_e32 v4, v12, v8
	v_cvt_f64_f32_e32 v[4:5], v4
	v_mul_f64 v[4:5], v[4:5], s[2:3]
	v_cvt_f32_f64_e32 v4, v[4:5]
	v_mul_f32_e32 v5, v13, v8
	v_fma_f32 v5, v12, v9, -v5
	ds_read2_b64 v[12:15], v191 offset0:56 offset1:252
	v_cvt_f64_f32_e32 v[8:9], v5
	v_mul_f64 v[8:9], v[8:9], s[2:3]
	v_cvt_f32_f64_e32 v5, v[8:9]
	global_store_dwordx2 v[0:1], v[4:5], off
	s_clause 0x1
	buffer_load_dword v8, off, s[20:23], 0 offset:112
	buffer_load_dword v9, off, s[20:23], 0 offset:116
	v_add_co_u32 v0, vcc_lo, v0, s5
	v_add_co_ci_u32_e32 v1, vcc_lo, s4, v1, vcc_lo
	ds_read2_b64 v[16:19], v174 offset0:8 offset1:204
	s_waitcnt vmcnt(0) lgkmcnt(1)
	v_mul_f32_e32 v4, v9, v13
	v_fmac_f32_e32 v4, v8, v12
	v_cvt_f64_f32_e32 v[4:5], v4
	v_mul_f64 v[4:5], v[4:5], s[2:3]
	v_cvt_f32_f64_e32 v4, v[4:5]
	v_mul_f32_e32 v5, v9, v12
	v_fma_f32 v5, v8, v13, -v5
	v_cvt_f64_f32_e32 v[8:9], v5
	v_mul_f64 v[8:9], v[8:9], s[2:3]
	v_cvt_f32_f64_e32 v5, v[8:9]
	global_store_dwordx2 v[0:1], v[4:5], off
	s_clause 0x1
	buffer_load_dword v8, off, s[20:23], 0 offset:88
	buffer_load_dword v9, off, s[20:23], 0 offset:92
	v_add_co_u32 v0, vcc_lo, v0, s5
	v_add_co_ci_u32_e32 v1, vcc_lo, s4, v1, vcc_lo
	ds_read2_b64 v[20:23], v185 offset0:24 offset1:220
	s_waitcnt vmcnt(0) lgkmcnt(1)
	v_mul_f32_e32 v4, v9, v17
	v_fmac_f32_e32 v4, v8, v16
	v_cvt_f64_f32_e32 v[4:5], v4
	v_mul_f64 v[4:5], v[4:5], s[2:3]
	v_cvt_f32_f64_e32 v4, v[4:5]
	v_mul_f32_e32 v5, v9, v16
	v_fma_f32 v5, v8, v17, -v5
	;; [unrolled: 18-line block ×3, first 2 shown]
	v_cvt_f64_f32_e32 v[8:9], v5
	v_mul_f64 v[8:9], v[8:9], s[2:3]
	v_cvt_f32_f64_e32 v5, v[8:9]
	global_store_dwordx2 v[0:1], v[4:5], off
	s_clause 0x1
	buffer_load_dword v8, off, s[20:23], 0 offset:72
	buffer_load_dword v9, off, s[20:23], 0 offset:76
	v_add_co_u32 v0, vcc_lo, v0, s5
	v_add_co_ci_u32_e32 v1, vcc_lo, s4, v1, vcc_lo
	s_waitcnt vmcnt(0) lgkmcnt(0)
	v_mul_f32_e32 v4, v9, v25
	v_fmac_f32_e32 v4, v8, v24
	v_cvt_f64_f32_e32 v[4:5], v4
	v_mul_f64 v[4:5], v[4:5], s[2:3]
	v_cvt_f32_f64_e32 v4, v[4:5]
	v_mul_f32_e32 v5, v9, v24
	v_fma_f32 v5, v8, v25, -v5
	v_cvt_f64_f32_e32 v[8:9], v5
	v_mul_f64 v[8:9], v[8:9], s[2:3]
	v_cvt_f32_f64_e32 v5, v[8:9]
	global_store_dwordx2 v[0:1], v[4:5], off
	s_clause 0x1
	buffer_load_dword v8, off, s[20:23], 0 offset:64
	buffer_load_dword v9, off, s[20:23], 0 offset:68
	v_add_co_u32 v0, vcc_lo, v0, s0
	v_add_co_ci_u32_e32 v1, vcc_lo, s1, v1, vcc_lo
	s_waitcnt vmcnt(0)
	v_mul_f32_e32 v4, v9, v3
	v_fmac_f32_e32 v4, v8, v2
	v_mul_f32_e32 v2, v9, v2
	v_cvt_f64_f32_e32 v[4:5], v4
	v_fma_f32 v2, v8, v3, -v2
	v_cvt_f64_f32_e32 v[2:3], v2
	v_mul_f64 v[4:5], v[4:5], s[2:3]
	v_mul_f64 v[2:3], v[2:3], s[2:3]
	v_cvt_f32_f64_e32 v4, v[4:5]
	v_cvt_f32_f64_e32 v5, v[2:3]
	global_store_dwordx2 v[0:1], v[4:5], off
	s_clause 0x1
	buffer_load_dword v3, off, s[20:23], 0 offset:40
	buffer_load_dword v4, off, s[20:23], 0 offset:44
	v_add_co_u32 v0, vcc_lo, v0, s5
	v_add_co_ci_u32_e32 v1, vcc_lo, s4, v1, vcc_lo
	s_waitcnt vmcnt(0)
	v_mul_f32_e32 v2, v4, v7
	v_mov_b32_e32 v5, v4
	v_mov_b32_e32 v4, v3
	v_fmac_f32_e32 v2, v3, v6
	v_cvt_f64_f32_e32 v[2:3], v2
	v_mul_f64 v[2:3], v[2:3], s[2:3]
	v_cvt_f32_f64_e32 v2, v[2:3]
	v_mul_f32_e32 v3, v5, v6
	v_fma_f32 v3, v4, v7, -v3
	v_cvt_f64_f32_e32 v[3:4], v3
	v_mul_f64 v[3:4], v[3:4], s[2:3]
	v_cvt_f32_f64_e32 v3, v[3:4]
	global_store_dwordx2 v[0:1], v[2:3], off
	s_clause 0x1
	buffer_load_dword v3, off, s[20:23], 0 offset:24
	buffer_load_dword v4, off, s[20:23], 0 offset:28
	v_add_co_u32 v0, vcc_lo, v0, s5
	v_add_co_ci_u32_e32 v1, vcc_lo, s4, v1, vcc_lo
	s_waitcnt vmcnt(0)
	v_mul_f32_e32 v2, v4, v11
	v_mov_b32_e32 v5, v4
	v_mov_b32_e32 v4, v3
	v_fmac_f32_e32 v2, v3, v10
	v_cvt_f64_f32_e32 v[2:3], v2
	v_mul_f64 v[2:3], v[2:3], s[2:3]
	v_cvt_f32_f64_e32 v2, v[2:3]
	v_mul_f32_e32 v3, v5, v10
	v_fma_f32 v3, v4, v11, -v3
	v_cvt_f64_f32_e32 v[3:4], v3
	v_mul_f64 v[3:4], v[3:4], s[2:3]
	;; [unrolled: 19-line block ×4, first 2 shown]
	v_cvt_f32_f64_e32 v3, v[3:4]
	global_store_dwordx2 v[0:1], v[2:3], off
	s_clause 0x1
	buffer_load_dword v3, off, s[20:23], 0
	buffer_load_dword v4, off, s[20:23], 0 offset:4
	v_add_co_u32 v0, vcc_lo, v0, s5
	v_add_co_ci_u32_e32 v1, vcc_lo, s4, v1, vcc_lo
	s_waitcnt vmcnt(0)
	v_mul_f32_e32 v2, v4, v23
	v_mov_b32_e32 v5, v4
	v_mov_b32_e32 v4, v3
	v_fmac_f32_e32 v2, v3, v22
	v_cvt_f64_f32_e32 v[2:3], v2
	v_mul_f64 v[2:3], v[2:3], s[2:3]
	v_cvt_f32_f64_e32 v2, v[2:3]
	v_mul_f32_e32 v3, v5, v22
	v_fma_f32 v3, v4, v23, -v3
	v_cvt_f64_f32_e32 v[3:4], v3
	v_mul_f64 v[3:4], v[3:4], s[2:3]
	v_cvt_f32_f64_e32 v3, v[3:4]
	global_store_dwordx2 v[0:1], v[2:3], off
	s_clause 0x1
	buffer_load_dword v3, off, s[20:23], 0 offset:8
	buffer_load_dword v4, off, s[20:23], 0 offset:12
	v_add_co_u32 v0, vcc_lo, v0, s5
	v_add_co_ci_u32_e32 v1, vcc_lo, s4, v1, vcc_lo
	s_waitcnt vmcnt(0)
	v_mul_f32_e32 v2, v4, v27
	v_mov_b32_e32 v5, v4
	v_mov_b32_e32 v4, v3
	v_fmac_f32_e32 v2, v3, v26
	v_cvt_f64_f32_e32 v[2:3], v2
	v_mul_f64 v[2:3], v[2:3], s[2:3]
	v_cvt_f32_f64_e32 v2, v[2:3]
	v_mul_f32_e32 v3, v5, v26
	v_fma_f32 v3, v4, v27, -v3
	v_cvt_f64_f32_e32 v[3:4], v3
	v_mul_f64 v[3:4], v[3:4], s[2:3]
	v_cvt_f32_f64_e32 v3, v[3:4]
	global_store_dwordx2 v[0:1], v[2:3], off
.LBB0_2:
	s_endpgm
	.section	.rodata,"a",@progbits
	.p2align	6, 0x0
	.amdhsa_kernel bluestein_single_fwd_len5488_dim1_sp_op_CI_CI
		.amdhsa_group_segment_fixed_size 43904
		.amdhsa_private_segment_fixed_size 364
		.amdhsa_kernarg_size 104
		.amdhsa_user_sgpr_count 6
		.amdhsa_user_sgpr_private_segment_buffer 1
		.amdhsa_user_sgpr_dispatch_ptr 0
		.amdhsa_user_sgpr_queue_ptr 0
		.amdhsa_user_sgpr_kernarg_segment_ptr 1
		.amdhsa_user_sgpr_dispatch_id 0
		.amdhsa_user_sgpr_flat_scratch_init 0
		.amdhsa_user_sgpr_private_segment_size 0
		.amdhsa_wavefront_size32 1
		.amdhsa_uses_dynamic_stack 0
		.amdhsa_system_sgpr_private_segment_wavefront_offset 1
		.amdhsa_system_sgpr_workgroup_id_x 1
		.amdhsa_system_sgpr_workgroup_id_y 0
		.amdhsa_system_sgpr_workgroup_id_z 0
		.amdhsa_system_sgpr_workgroup_info 0
		.amdhsa_system_vgpr_workitem_id 0
		.amdhsa_next_free_vgpr 256
		.amdhsa_next_free_sgpr 24
		.amdhsa_reserve_vcc 1
		.amdhsa_reserve_flat_scratch 0
		.amdhsa_float_round_mode_32 0
		.amdhsa_float_round_mode_16_64 0
		.amdhsa_float_denorm_mode_32 3
		.amdhsa_float_denorm_mode_16_64 3
		.amdhsa_dx10_clamp 1
		.amdhsa_ieee_mode 1
		.amdhsa_fp16_overflow 0
		.amdhsa_workgroup_processor_mode 1
		.amdhsa_memory_ordered 1
		.amdhsa_forward_progress 0
		.amdhsa_shared_vgpr_count 0
		.amdhsa_exception_fp_ieee_invalid_op 0
		.amdhsa_exception_fp_denorm_src 0
		.amdhsa_exception_fp_ieee_div_zero 0
		.amdhsa_exception_fp_ieee_overflow 0
		.amdhsa_exception_fp_ieee_underflow 0
		.amdhsa_exception_fp_ieee_inexact 0
		.amdhsa_exception_int_div_zero 0
	.end_amdhsa_kernel
	.text
.Lfunc_end0:
	.size	bluestein_single_fwd_len5488_dim1_sp_op_CI_CI, .Lfunc_end0-bluestein_single_fwd_len5488_dim1_sp_op_CI_CI
                                        ; -- End function
	.section	.AMDGPU.csdata,"",@progbits
; Kernel info:
; codeLenInByte = 31056
; NumSgprs: 26
; NumVgprs: 256
; ScratchSize: 364
; MemoryBound: 0
; FloatMode: 240
; IeeeMode: 1
; LDSByteSize: 43904 bytes/workgroup (compile time only)
; SGPRBlocks: 3
; VGPRBlocks: 31
; NumSGPRsForWavesPerEU: 26
; NumVGPRsForWavesPerEU: 256
; Occupancy: 4
; WaveLimiterHint : 1
; COMPUTE_PGM_RSRC2:SCRATCH_EN: 1
; COMPUTE_PGM_RSRC2:USER_SGPR: 6
; COMPUTE_PGM_RSRC2:TRAP_HANDLER: 0
; COMPUTE_PGM_RSRC2:TGID_X_EN: 1
; COMPUTE_PGM_RSRC2:TGID_Y_EN: 0
; COMPUTE_PGM_RSRC2:TGID_Z_EN: 0
; COMPUTE_PGM_RSRC2:TIDIG_COMP_CNT: 0
	.text
	.p2alignl 6, 3214868480
	.fill 48, 4, 3214868480
	.type	__hip_cuid_55f464b4b6d6e8a1,@object ; @__hip_cuid_55f464b4b6d6e8a1
	.section	.bss,"aw",@nobits
	.globl	__hip_cuid_55f464b4b6d6e8a1
__hip_cuid_55f464b4b6d6e8a1:
	.byte	0                               ; 0x0
	.size	__hip_cuid_55f464b4b6d6e8a1, 1

	.ident	"AMD clang version 19.0.0git (https://github.com/RadeonOpenCompute/llvm-project roc-6.4.0 25133 c7fe45cf4b819c5991fe208aaa96edf142730f1d)"
	.section	".note.GNU-stack","",@progbits
	.addrsig
	.addrsig_sym __hip_cuid_55f464b4b6d6e8a1
	.amdgpu_metadata
---
amdhsa.kernels:
  - .args:
      - .actual_access:  read_only
        .address_space:  global
        .offset:         0
        .size:           8
        .value_kind:     global_buffer
      - .actual_access:  read_only
        .address_space:  global
        .offset:         8
        .size:           8
        .value_kind:     global_buffer
      - .actual_access:  read_only
        .address_space:  global
        .offset:         16
        .size:           8
        .value_kind:     global_buffer
      - .actual_access:  read_only
        .address_space:  global
        .offset:         24
        .size:           8
        .value_kind:     global_buffer
      - .actual_access:  read_only
        .address_space:  global
        .offset:         32
        .size:           8
        .value_kind:     global_buffer
      - .offset:         40
        .size:           8
        .value_kind:     by_value
      - .address_space:  global
        .offset:         48
        .size:           8
        .value_kind:     global_buffer
      - .address_space:  global
        .offset:         56
        .size:           8
        .value_kind:     global_buffer
      - .address_space:  global
        .offset:         64
        .size:           8
        .value_kind:     global_buffer
      - .address_space:  global
        .offset:         72
        .size:           8
        .value_kind:     global_buffer
      - .offset:         80
        .size:           4
        .value_kind:     by_value
      - .address_space:  global
        .offset:         88
        .size:           8
        .value_kind:     global_buffer
      - .address_space:  global
        .offset:         96
        .size:           8
        .value_kind:     global_buffer
    .group_segment_fixed_size: 43904
    .kernarg_segment_align: 8
    .kernarg_segment_size: 104
    .language:       OpenCL C
    .language_version:
      - 2
      - 0
    .max_flat_workgroup_size: 196
    .name:           bluestein_single_fwd_len5488_dim1_sp_op_CI_CI
    .private_segment_fixed_size: 364
    .sgpr_count:     26
    .sgpr_spill_count: 0
    .symbol:         bluestein_single_fwd_len5488_dim1_sp_op_CI_CI.kd
    .uniform_work_group_size: 1
    .uses_dynamic_stack: false
    .vgpr_count:     256
    .vgpr_spill_count: 90
    .wavefront_size: 32
    .workgroup_processor_mode: 1
amdhsa.target:   amdgcn-amd-amdhsa--gfx1030
amdhsa.version:
  - 1
  - 2
...

	.end_amdgpu_metadata
